;; amdgpu-corpus repo=ROCm/rocFFT kind=compiled arch=gfx950 opt=O3
	.text
	.amdgcn_target "amdgcn-amd-amdhsa--gfx950"
	.amdhsa_code_object_version 6
	.protected	fft_rtc_fwd_len1122_factors_17_11_6_wgs_204_tpt_102_halfLds_sp_ip_CI_sbrr_dirReg ; -- Begin function fft_rtc_fwd_len1122_factors_17_11_6_wgs_204_tpt_102_halfLds_sp_ip_CI_sbrr_dirReg
	.globl	fft_rtc_fwd_len1122_factors_17_11_6_wgs_204_tpt_102_halfLds_sp_ip_CI_sbrr_dirReg
	.p2align	8
	.type	fft_rtc_fwd_len1122_factors_17_11_6_wgs_204_tpt_102_halfLds_sp_ip_CI_sbrr_dirReg,@function
fft_rtc_fwd_len1122_factors_17_11_6_wgs_204_tpt_102_halfLds_sp_ip_CI_sbrr_dirReg: ; @fft_rtc_fwd_len1122_factors_17_11_6_wgs_204_tpt_102_halfLds_sp_ip_CI_sbrr_dirReg
; %bb.0:
	s_load_dwordx2 s[12:13], s[0:1], 0x18
	s_load_dwordx4 s[4:7], s[0:1], 0x0
	s_load_dwordx2 s[10:11], s[0:1], 0x50
	v_mul_u32_u24_e32 v1, 0x283, v0
	v_lshrrev_b32_e32 v26, 16, v1
	s_waitcnt lgkmcnt(0)
	s_load_dwordx2 s[8:9], s[12:13], 0x0
	v_lshl_add_u32 v6, s2, 1, v26
	v_mov_b32_e32 v4, 0
	v_cmp_lt_u64_e64 s[2:3], s[6:7], 2
	v_mov_b32_e32 v7, v4
	s_and_b64 vcc, exec, s[2:3]
	v_mov_b64_e32 v[2:3], 0
	s_cbranch_vccnz .LBB0_8
; %bb.1:
	s_load_dwordx2 s[2:3], s[0:1], 0x10
	s_add_u32 s14, s12, 8
	s_addc_u32 s15, s13, 0
	s_mov_b64 s[16:17], 1
	v_mov_b64_e32 v[2:3], 0
	s_waitcnt lgkmcnt(0)
	s_add_u32 s18, s2, 8
	s_addc_u32 s19, s3, 0
.LBB0_2:                                ; =>This Inner Loop Header: Depth=1
	s_load_dwordx2 s[20:21], s[18:19], 0x0
                                        ; implicit-def: $vgpr8_vgpr9
	s_waitcnt lgkmcnt(0)
	v_or_b32_e32 v5, s21, v7
	v_cmp_ne_u64_e32 vcc, 0, v[4:5]
	s_and_saveexec_b64 s[2:3], vcc
	s_xor_b64 s[22:23], exec, s[2:3]
	s_cbranch_execz .LBB0_4
; %bb.3:                                ;   in Loop: Header=BB0_2 Depth=1
	v_cvt_f32_u32_e32 v1, s20
	v_cvt_f32_u32_e32 v5, s21
	s_sub_u32 s2, 0, s20
	s_subb_u32 s3, 0, s21
	v_fmac_f32_e32 v1, 0x4f800000, v5
	v_rcp_f32_e32 v1, v1
	s_nop 0
	v_mul_f32_e32 v1, 0x5f7ffffc, v1
	v_mul_f32_e32 v5, 0x2f800000, v1
	v_trunc_f32_e32 v5, v5
	v_fmac_f32_e32 v1, 0xcf800000, v5
	v_cvt_u32_f32_e32 v5, v5
	v_cvt_u32_f32_e32 v1, v1
	v_mul_lo_u32 v8, s2, v5
	v_mul_hi_u32 v10, s2, v1
	v_mul_lo_u32 v9, s3, v1
	v_add_u32_e32 v10, v10, v8
	v_mul_lo_u32 v12, s2, v1
	v_add_u32_e32 v13, v10, v9
	v_mul_hi_u32 v8, v1, v12
	v_mul_hi_u32 v11, v1, v13
	v_mul_lo_u32 v10, v1, v13
	v_mov_b32_e32 v9, v4
	v_lshl_add_u64 v[8:9], v[8:9], 0, v[10:11]
	v_mul_hi_u32 v11, v5, v12
	v_mul_lo_u32 v12, v5, v12
	v_add_co_u32_e32 v8, vcc, v8, v12
	v_mul_hi_u32 v10, v5, v13
	s_nop 0
	v_addc_co_u32_e32 v8, vcc, v9, v11, vcc
	v_mov_b32_e32 v9, v4
	s_nop 0
	v_addc_co_u32_e32 v11, vcc, 0, v10, vcc
	v_mul_lo_u32 v10, v5, v13
	v_lshl_add_u64 v[8:9], v[8:9], 0, v[10:11]
	v_add_co_u32_e32 v1, vcc, v1, v8
	v_mul_lo_u32 v10, s2, v1
	s_nop 0
	v_addc_co_u32_e32 v5, vcc, v5, v9, vcc
	v_mul_lo_u32 v8, s2, v5
	v_mul_hi_u32 v9, s2, v1
	v_add_u32_e32 v8, v9, v8
	v_mul_lo_u32 v9, s3, v1
	v_add_u32_e32 v12, v8, v9
	v_mul_hi_u32 v14, v5, v10
	v_mul_lo_u32 v15, v5, v10
	v_mul_hi_u32 v9, v1, v12
	v_mul_lo_u32 v8, v1, v12
	v_mul_hi_u32 v10, v1, v10
	v_mov_b32_e32 v11, v4
	v_lshl_add_u64 v[8:9], v[10:11], 0, v[8:9]
	v_add_co_u32_e32 v8, vcc, v8, v15
	v_mul_hi_u32 v13, v5, v12
	s_nop 0
	v_addc_co_u32_e32 v8, vcc, v9, v14, vcc
	v_mul_lo_u32 v10, v5, v12
	s_nop 0
	v_addc_co_u32_e32 v11, vcc, 0, v13, vcc
	v_mov_b32_e32 v9, v4
	v_lshl_add_u64 v[8:9], v[8:9], 0, v[10:11]
	v_add_co_u32_e32 v1, vcc, v1, v8
	v_mul_hi_u32 v10, v6, v1
	s_nop 0
	v_addc_co_u32_e32 v5, vcc, v5, v9, vcc
	v_mad_u64_u32 v[8:9], s[2:3], v6, v5, 0
	v_mov_b32_e32 v11, v4
	v_lshl_add_u64 v[8:9], v[10:11], 0, v[8:9]
	v_mad_u64_u32 v[12:13], s[2:3], v7, v1, 0
	v_add_co_u32_e32 v1, vcc, v8, v12
	v_mad_u64_u32 v[10:11], s[2:3], v7, v5, 0
	s_nop 0
	v_addc_co_u32_e32 v8, vcc, v9, v13, vcc
	v_mov_b32_e32 v9, v4
	s_nop 0
	v_addc_co_u32_e32 v11, vcc, 0, v11, vcc
	v_lshl_add_u64 v[8:9], v[8:9], 0, v[10:11]
	v_mul_lo_u32 v1, s21, v8
	v_mul_lo_u32 v5, s20, v9
	v_mad_u64_u32 v[10:11], s[2:3], s20, v8, 0
	v_add3_u32 v1, v11, v5, v1
	v_sub_u32_e32 v5, v7, v1
	v_mov_b32_e32 v11, s21
	v_sub_co_u32_e32 v14, vcc, v6, v10
	v_lshl_add_u64 v[12:13], v[8:9], 0, 1
	s_nop 0
	v_subb_co_u32_e64 v5, s[2:3], v5, v11, vcc
	v_subrev_co_u32_e64 v10, s[2:3], s20, v14
	v_subb_co_u32_e32 v1, vcc, v7, v1, vcc
	s_nop 0
	v_subbrev_co_u32_e64 v5, s[2:3], 0, v5, s[2:3]
	v_cmp_le_u32_e64 s[2:3], s21, v5
	v_cmp_le_u32_e32 vcc, s21, v1
	s_nop 0
	v_cndmask_b32_e64 v11, 0, -1, s[2:3]
	v_cmp_le_u32_e64 s[2:3], s20, v10
	s_nop 1
	v_cndmask_b32_e64 v10, 0, -1, s[2:3]
	v_cmp_eq_u32_e64 s[2:3], s21, v5
	s_nop 1
	v_cndmask_b32_e64 v5, v11, v10, s[2:3]
	v_lshl_add_u64 v[10:11], v[8:9], 0, 2
	v_cmp_ne_u32_e64 s[2:3], 0, v5
	s_nop 1
	v_cndmask_b32_e64 v5, v13, v11, s[2:3]
	v_cndmask_b32_e64 v11, 0, -1, vcc
	v_cmp_le_u32_e32 vcc, s20, v14
	s_nop 1
	v_cndmask_b32_e64 v13, 0, -1, vcc
	v_cmp_eq_u32_e32 vcc, s21, v1
	s_nop 1
	v_cndmask_b32_e32 v1, v11, v13, vcc
	v_cmp_ne_u32_e32 vcc, 0, v1
	v_cndmask_b32_e64 v1, v12, v10, s[2:3]
	s_nop 0
	v_cndmask_b32_e32 v9, v9, v5, vcc
	v_cndmask_b32_e32 v8, v8, v1, vcc
.LBB0_4:                                ;   in Loop: Header=BB0_2 Depth=1
	s_andn2_saveexec_b64 s[2:3], s[22:23]
	s_cbranch_execz .LBB0_6
; %bb.5:                                ;   in Loop: Header=BB0_2 Depth=1
	v_cvt_f32_u32_e32 v1, s20
	s_sub_i32 s22, 0, s20
	v_rcp_iflag_f32_e32 v1, v1
	s_nop 0
	v_mul_f32_e32 v1, 0x4f7ffffe, v1
	v_cvt_u32_f32_e32 v1, v1
	v_mul_lo_u32 v5, s22, v1
	v_mul_hi_u32 v5, v1, v5
	v_add_u32_e32 v1, v1, v5
	v_mul_hi_u32 v1, v6, v1
	v_mul_lo_u32 v5, v1, s20
	v_sub_u32_e32 v5, v6, v5
	v_add_u32_e32 v8, 1, v1
	v_subrev_u32_e32 v9, s20, v5
	v_cmp_le_u32_e32 vcc, s20, v5
	s_nop 1
	v_cndmask_b32_e32 v5, v5, v9, vcc
	v_cndmask_b32_e32 v1, v1, v8, vcc
	v_add_u32_e32 v8, 1, v1
	v_cmp_le_u32_e32 vcc, s20, v5
	v_mov_b32_e32 v9, v4
	s_nop 0
	v_cndmask_b32_e32 v8, v1, v8, vcc
.LBB0_6:                                ;   in Loop: Header=BB0_2 Depth=1
	s_or_b64 exec, exec, s[2:3]
	v_mad_u64_u32 v[10:11], s[2:3], v8, s20, 0
	s_load_dwordx2 s[2:3], s[14:15], 0x0
	v_mul_lo_u32 v1, v9, s20
	v_mul_lo_u32 v5, v8, s21
	v_add3_u32 v1, v11, v5, v1
	v_sub_co_u32_e32 v5, vcc, v6, v10
	s_add_u32 s16, s16, 1
	s_nop 0
	v_subb_co_u32_e32 v1, vcc, v7, v1, vcc
	s_addc_u32 s17, s17, 0
	s_waitcnt lgkmcnt(0)
	v_mul_lo_u32 v1, s2, v1
	v_mul_lo_u32 v6, s3, v5
	v_mad_u64_u32 v[2:3], s[2:3], s2, v5, v[2:3]
	s_add_u32 s14, s14, 8
	v_add3_u32 v3, v6, v3, v1
	s_addc_u32 s15, s15, 0
	v_mov_b64_e32 v[6:7], s[6:7]
	s_add_u32 s18, s18, 8
	v_cmp_ge_u64_e32 vcc, s[16:17], v[6:7]
	s_addc_u32 s19, s19, 0
	s_cbranch_vccnz .LBB0_9
; %bb.7:                                ;   in Loop: Header=BB0_2 Depth=1
	v_mov_b64_e32 v[6:7], v[8:9]
	s_branch .LBB0_2
.LBB0_8:
	v_mov_b64_e32 v[8:9], v[6:7]
.LBB0_9:
	s_lshl_b64 s[2:3], s[6:7], 3
	s_add_u32 s2, s12, s2
	s_addc_u32 s3, s13, s3
	s_load_dwordx2 s[6:7], s[2:3], 0x0
	s_load_dwordx2 s[12:13], s[0:1], 0x20
	v_mov_b32_e32 v23, 0
                                        ; implicit-def: $vgpr10
                                        ; implicit-def: $vgpr24
                                        ; implicit-def: $vgpr56
                                        ; implicit-def: $vgpr6
                                        ; implicit-def: $vgpr58
                                        ; implicit-def: $vgpr20
                                        ; implicit-def: $vgpr60
                                        ; implicit-def: $vgpr18
                                        ; implicit-def: $vgpr62
                                        ; implicit-def: $vgpr14
                                        ; implicit-def: $vgpr66
                                        ; implicit-def: $vgpr16
                                        ; implicit-def: $vgpr64
                                        ; implicit-def: $vgpr12
	s_waitcnt lgkmcnt(0)
	v_mad_u64_u32 v[2:3], s[0:1], s6, v8, v[2:3]
	v_mul_lo_u32 v1, s6, v9
	v_mul_lo_u32 v4, s7, v8
	s_mov_b32 s0, 0x2828283
	v_add3_u32 v3, v4, v3, v1
	v_mul_hi_u32 v1, v0, s0
	v_mul_u32_u24_e32 v1, 0x66, v1
	v_sub_u32_e32 v118, v0, v1
	s_movk_i32 s0, 0x42
	v_cmp_gt_u64_e32 vcc, s[12:13], v[8:9]
	v_cmp_gt_u32_e64 s[0:1], s0, v118
	s_and_b64 s[6:7], vcc, s[0:1]
	v_lshl_add_u64 v[0:1], v[2:3], 3, s[10:11]
	v_mov_b32_e32 v2, 0
                                        ; implicit-def: $vgpr4
                                        ; implicit-def: $vgpr8
	s_and_saveexec_b64 s[2:3], s[6:7]
	s_cbranch_execz .LBB0_11
; %bb.10:
	v_mad_u64_u32 v[2:3], s[6:7], s8, v118, 0
	v_mov_b32_e32 v4, v3
	v_mad_u64_u32 v[4:5], s[6:7], s9, v118, v[4:5]
	v_add_u32_e32 v7, 0x42, v118
	v_mov_b32_e32 v3, v4
	v_mad_u64_u32 v[4:5], s[6:7], s8, v7, 0
	v_mov_b32_e32 v6, v5
	v_mad_u64_u32 v[6:7], s[6:7], s9, v7, v[6:7]
	v_mov_b32_e32 v5, v6
	v_add_u32_e32 v7, 0x84, v118
	v_lshl_add_u64 v[22:23], v[4:5], 3, v[0:1]
	v_mad_u64_u32 v[4:5], s[6:7], s8, v7, 0
	v_mov_b32_e32 v6, v5
	v_mad_u64_u32 v[6:7], s[6:7], s9, v7, v[6:7]
	v_mov_b32_e32 v5, v6
	v_add_u32_e32 v7, 0xc6, v118
	v_lshl_add_u64 v[28:29], v[4:5], 3, v[0:1]
	;; [unrolled: 6-line block ×10, first 2 shown]
	v_mad_u64_u32 v[4:5], s[6:7], s8, v7, 0
	v_mov_b32_e32 v6, v5
	v_mad_u64_u32 v[6:7], s[6:7], s9, v7, v[6:7]
	v_lshl_add_u64 v[2:3], v[2:3], 3, v[0:1]
	v_mov_b32_e32 v5, v6
	global_load_dwordx2 v[2:3], v[2:3], off
	v_lshl_add_u64 v[34:35], v[4:5], 3, v[0:1]
	global_load_dwordx2 v[10:11], v[20:21], off
	global_load_dwordx2 v[4:5], v[24:25], off
	;; [unrolled: 1-line block ×4, first 2 shown]
	v_add_u32_e32 v25, 0x318, v118
	v_mad_u64_u32 v[20:21], s[6:7], s8, v25, 0
	v_mov_b32_e32 v24, v21
	v_mad_u64_u32 v[24:25], s[6:7], s9, v25, v[24:25]
	v_mov_b32_e32 v21, v24
	v_add_u32_e32 v25, 0x35a, v118
	v_lshl_add_u64 v[32:33], v[20:21], 3, v[0:1]
	v_mad_u64_u32 v[20:21], s[6:7], s8, v25, 0
	v_mov_b32_e32 v24, v21
	v_mad_u64_u32 v[24:25], s[6:7], s9, v25, v[24:25]
	v_mov_b32_e32 v21, v24
	global_load_dwordx2 v[24:25], v[18:19], off
	global_load_dwordx2 v[56:57], v[16:17], off
	;; [unrolled: 1-line block ×4, first 2 shown]
	v_add_u32_e32 v15, 0x39c, v118
	v_mad_u64_u32 v[12:13], s[6:7], s8, v15, 0
	v_mov_b32_e32 v14, v13
	v_mad_u64_u32 v[14:15], s[6:7], s9, v15, v[14:15]
	v_add_u32_e32 v17, 0x3de, v118
	v_mov_b32_e32 v13, v14
	v_mad_u64_u32 v[14:15], s[6:7], s8, v17, 0
	v_mov_b32_e32 v16, v15
	v_mad_u64_u32 v[16:17], s[6:7], s9, v17, v[16:17]
	v_lshl_add_u64 v[12:13], v[12:13], 3, v[0:1]
	v_mov_b32_e32 v15, v16
	v_add_u32_e32 v27, 0x420, v118
	v_lshl_add_u64 v[34:35], v[20:21], 3, v[0:1]
	v_lshl_add_u64 v[36:37], v[14:15], 3, v[0:1]
	global_load_dwordx2 v[20:21], v[32:33], off
	global_load_dwordx2 v[18:19], v[34:35], off
	;; [unrolled: 1-line block ×4, first 2 shown]
	v_mad_u64_u32 v[12:13], s[6:7], s8, v27, 0
	v_mov_b32_e32 v32, v13
	v_mad_u64_u32 v[32:33], s[6:7], s9, v27, v[32:33]
	v_mov_b32_e32 v13, v32
	v_lshl_add_u64 v[32:33], v[12:13], 3, v[0:1]
	global_load_dwordx2 v[62:63], v[30:31], off
	global_load_dwordx2 v[66:67], v[28:29], off
	;; [unrolled: 1-line block ×4, first 2 shown]
	s_waitcnt vmcnt(14)
	v_mov_b32_e32 v22, v5
	v_mov_b32_e32 v23, v3
.LBB0_11:
	s_or_b64 exec, exec, s[2:3]
	s_waitcnt vmcnt(0)
	v_pk_add_f32 v[82:83], v[64:65], v[12:13]
	v_pk_add_f32 v[34:35], v[64:65], v[12:13] neg_lo:[0,1] neg_hi:[0,1]
	v_mul_f32_e32 v84, 0xbf1a4643, v82
	v_pk_add_f32 v[50:51], v[66:67], v[16:17]
	v_fmamk_f32 v3, v35, 0xbf4c4adb, v84
	v_pk_add_f32 v[36:37], v[66:67], v[16:17] neg_lo:[0,1] neg_hi:[0,1]
	v_mul_f32_e32 v68, 0xbe8c1d8e, v50
	v_pk_add_f32 v[52:53], v[62:63], v[14:15]
	v_add_f32_e32 v3, v2, v3
	v_fmamk_f32 v5, v37, 0x3f763a35, v68
	v_pk_add_f32 v[38:39], v[62:63], v[14:15] neg_lo:[0,1] neg_hi:[0,1]
	v_mul_f32_e32 v70, 0x3f6eb680, v52
	v_pk_add_f32 v[54:55], v[60:61], v[18:19]
	v_add_f32_e32 v3, v3, v5
	;; [unrolled: 5-line block ×5, first 2 shown]
	v_fmamk_f32 v5, v33, 0xbf2c7751, v76
	v_pk_add_f32 v[30:31], v[24:25], v[8:9] neg_lo:[0,1] neg_hi:[0,1]
	v_mul_f32_e32 v78, 0xbf7ba420, v48
	v_add_f32_e32 v3, v3, v5
	v_fmamk_f32 v5, v31, 0xbe3c28d5, v78
	v_add_f32_e32 v3, v3, v5
	v_and_b32_e32 v5, 1, v26
	v_mov_b32_e32 v26, 0x462
	v_cmp_eq_u32_e64 s[2:3], 1, v5
	v_mov_b32_e32 v5, v22
	v_pk_add_f32 v[28:29], v[10:11], v[4:5] neg_lo:[0,1] neg_hi:[0,1]
	v_cndmask_b32_e64 v69, 0, v26, s[2:3]
	v_pk_add_f32 v[26:27], v[10:11], v[4:5]
	s_mov_b32 s10, 0xbf59a7d5
	v_mul_f32_e32 v80, 0x3ee437d1, v26
	s_mov_b32 s22, 0xbf4c4adb
	s_mov_b32 s12, 0xbe8c1d8e
	;; [unrolled: 1-line block ×6, first 2 shown]
	v_fmamk_f32 v5, v29, 0x3f65296c, v80
	s_mov_b32 s11, 0xbf1a4643
	s_mov_b32 s23, 0xbf06c442
	;; [unrolled: 1-line block ×9, first 2 shown]
	v_add_f32_e32 v3, v3, v5
	v_lshlrev_b32_e32 v119, 2, v69
	s_and_saveexec_b64 s[24:25], s[0:1]
	s_cbranch_execz .LBB0_13
; %bb.12:
	v_mov_b32_e32 v88, v82
	v_mov_b32_e32 v89, v35
	v_mul_f32_e32 v85, 0xbf59a7d5, v82
	s_mov_b32 s26, s14
	s_mov_b32 s27, s2
	v_fmamk_f32 v69, v35, 0xbf06c442, v85
	v_pk_mul_f32 v[86:87], v[88:89], s[26:27]
	v_mov_b32_e32 v5, v2
	v_add_f32_e32 v2, v2, v69
	v_mov_b32_e32 v69, v86
	v_pk_fma_f32 v[102:103], v[88:89], s[26:27], v[68:69] neg_lo:[1,0,0] neg_hi:[1,0,0]
	v_mov_b32_e32 v90, v50
	v_mov_b32_e32 v91, v37
	s_mov_b32 s26, s6
	s_mov_b32 s27, s18
	v_pk_mul_f32 v[88:89], v[90:91], s[26:27]
	v_mov_b32_e32 v92, v52
	v_mov_b32_e32 v69, v88
	v_pk_fma_f32 v[104:105], v[90:91], s[26:27], v[68:69] neg_lo:[1,0,0] neg_hi:[1,0,0]
	s_mov_b32 s26, 0x3eb8f4ab
	s_mov_b32 s27, 0xbf65296c
	v_mov_b32_e32 v93, v39
	s_mov_b32 s28, s13
	s_mov_b32 s29, s27
	v_pk_mul_f32 v[90:91], v[92:93], s[28:29]
	v_mov_b32_e32 v94, v54
	v_mov_b32_e32 v69, v90
	v_pk_fma_f32 v[106:107], v[92:93], s[28:29], v[68:69] neg_lo:[1,0,0] neg_hi:[1,0,0]
	s_mov_b32 s28, 0xbf7ee86f
	v_mov_b32_e32 v95, v41
	s_mov_b32 s29, 0xbf763a35
	s_mov_b32 s30, s15
	;; [unrolled: 1-line block ×3, first 2 shown]
	v_mov_b32_e32 v102, v5
	v_pk_mul_f32 v[92:93], v[94:95], s[30:31]
	v_pk_add_f32 v[120:121], v[102:103], v[64:65]
	v_mov_b32_e32 v69, v92
	v_pk_add_f32 v[120:121], v[120:121], v[66:67]
	v_pk_fma_f32 v[108:109], v[94:95], s[30:31], v[68:69] neg_lo:[1,0,0] neg_hi:[1,0,0]
	v_mov_b32_e32 v96, v46
	v_mov_b32_e32 v97, v43
	s_mov_b32 s30, s12
	s_mov_b32 s31, s29
	v_pk_add_f32 v[120:121], v[120:121], v[62:63]
	v_pk_mul_f32 v[94:95], v[96:97], s[30:31]
	v_pk_add_f32 v[120:121], v[120:121], v[60:61]
	v_mov_b32_e32 v69, v94
	v_pk_add_f32 v[120:121], v[120:121], v[58:59]
	v_pk_fma_f32 v[110:111], v[96:97], s[30:31], v[68:69] neg_lo:[1,0,0] neg_hi:[1,0,0]
	v_mov_b32_e32 v98, v44
	v_mov_b32_e32 v99, v33
	s_mov_b32 s30, s11
	s_mov_b32 s31, s22
	v_pk_add_f32 v[120:121], v[120:121], v[56:57]
	v_pk_mul_f32 v[96:97], v[98:99], s[30:31]
	v_pk_add_f32 v[120:121], v[120:121], v[24:25]
	v_mov_b32_e32 v69, v96
	v_pk_add_f32 v[120:121], v[120:121], v[10:11]
	v_pk_fma_f32 v[112:113], v[98:99], s[30:31], v[68:69] neg_lo:[1,0,0] neg_hi:[1,0,0]
	v_mov_b32_e32 v100, v48
	v_mov_b32_e32 v101, v31
	s_mov_b32 s30, s10
	s_mov_b32 s31, s23
	v_mov_b32_e32 v121, v103
	v_pk_mul_f32 v[98:99], v[100:101], s[30:31]
	v_pk_add_f32 v[102:103], v[120:121], v[4:5]
	v_mov_b32_e32 v104, v8
	v_mov_b32_e32 v69, v98
	v_pk_add_f32 v[102:103], v[104:105], v[102:103]
	v_mov_b32_e32 v106, v6
	v_pk_fma_f32 v[114:115], v[100:101], s[30:31], v[68:69] neg_lo:[1,0,0] neg_hi:[1,0,0]
	v_mov_b32_e32 v116, v26
	v_mov_b32_e32 v117, v29
	s_mov_b32 s30, s7
	s_mov_b32 s31, s19
	v_pk_add_f32 v[102:103], v[106:107], v[102:103]
	v_mov_b32_e32 v108, v20
	v_pk_mul_f32 v[100:101], v[116:117], s[30:31]
	v_pk_add_f32 v[102:103], v[108:109], v[102:103]
	v_mov_b32_e32 v110, v18
	v_mov_b32_e32 v69, v100
	v_pk_add_f32 v[102:103], v[110:111], v[102:103]
	v_mov_b32_e32 v112, v14
	v_pk_fma_f32 v[116:117], v[116:117], s[30:31], v[68:69] neg_lo:[1,0,0] neg_hi:[1,0,0]
	v_pk_add_f32 v[102:103], v[112:113], v[102:103]
	v_mov_b32_e32 v114, v16
	v_pk_add_f32 v[102:103], v[114:115], v[102:103]
	v_mov_b32_e32 v116, v12
	v_mul_u32_u24_e32 v6, 0x44, v118
	v_pk_add_f32 v[102:103], v[116:117], v[102:103]
	v_add3_u32 v10, 0, v6, v119
	s_mov_b32 s36, s6
	s_mov_b32 s37, s13
	ds_write2_b32 v10, v102, v103 offset1:1
	s_mov_b32 s30, s18
	s_mov_b32 s31, s27
	v_pk_mul_f32 v[102:103], v[82:83], s[36:37] op_sel_hi:[0,1]
	s_mov_b32 s38, s15
	s_mov_b32 s39, s11
	v_pk_fma_f32 v[104:105], v[34:35], s[30:31], v[102:103] op_sel:[1,0,0] neg_lo:[1,0,0] neg_hi:[1,0,0]
	s_mov_b32 s34, s28
	s_mov_b32 s35, s22
	v_pk_add_f32 v[106:107], v[4:5], v[104:105] op_sel:[1,0]
	v_pk_mul_f32 v[104:105], v[50:51], s[38:39] op_sel_hi:[0,1]
	v_pk_fma_f32 v[108:109], v[36:37], s[34:35], v[104:105] op_sel:[1,0,0] neg_lo:[1,0,0] neg_hi:[1,0,0]
	s_mov_b32 s38, s11
	s_mov_b32 s39, s7
	v_pk_add_f32 v[108:109], v[106:107], v[108:109]
	s_mov_b32 s37, 0x3e3c28d5
	s_mov_b32 s36, s22
	v_pk_mul_f32 v[106:107], v[52:53], s[38:39] op_sel_hi:[0,1]
	v_pk_fma_f32 v[110:111], v[38:39], s[36:37], v[106:107] op_sel:[1,0,0] neg_lo:[1,0,0] neg_hi:[1,0,0]
	s_mov_b32 s40, s7
	s_mov_b32 s41, s12
	v_pk_add_f32 v[110:111], v[108:109], v[110:111]
	s_mov_b32 s38, s19
	s_mov_b32 s39, s16
	v_pk_mul_f32 v[108:109], v[54:55], s[40:41] op_sel_hi:[0,1]
	v_pk_fma_f32 v[112:113], v[40:41], s[38:39], v[108:109] op_sel:[1,0,0] neg_lo:[1,0,0] neg_hi:[1,0,0]
	s_mov_b32 s49, 0x3f2c7751
	s_mov_b32 s51, 0x3f06c442
	;; [unrolled: 1-line block ×4, first 2 shown]
	v_pk_add_f32 v[112:113], v[110:111], v[112:113]
	s_mov_b32 s40, s51
	s_mov_b32 s41, s49
	v_pk_mul_f32 v[110:111], v[46:47], s[42:43] op_sel_hi:[0,1]
	v_pk_fma_f32 v[114:115], v[42:43], s[40:41], v[110:111] op_sel:[1,0,0] neg_lo:[1,0,0] neg_hi:[1,0,0]
	s_mov_b32 s44, s12
	s_mov_b32 s45, s14
	v_pk_add_f32 v[114:115], v[112:113], v[114:115]
	s_mov_b32 s42, s16
	s_mov_b32 s43, s2
	v_pk_mul_f32 v[112:113], v[44:45], s[44:45] op_sel_hi:[0,1]
	v_pk_fma_f32 v[116:117], v[32:33], s[42:43], v[112:113] op_sel:[1,0,0] neg_lo:[1,0,0] neg_hi:[1,0,0]
	s_mov_b32 s46, s13
	s_mov_b32 s47, s15
	;; [unrolled: 7-line block ×3, first 2 shown]
	v_pk_add_f32 v[120:121], v[116:117], v[120:121]
	s_mov_b32 s46, s26
	s_mov_b32 s47, s23
	v_pk_mul_f32 v[116:117], v[26:27], s[52:53] op_sel_hi:[0,1]
	v_pk_fma_f32 v[122:123], v[28:29], s[46:47], v[116:117] op_sel:[1,0,0] neg_lo:[1,0,0] neg_hi:[1,0,0]
	s_mov_b32 s52, s15
	v_pk_add_f32 v[120:121], v[120:121], v[122:123]
	s_mov_b32 s53, s12
	ds_write2_b32 v10, v120, v121 offset0:2 offset1:3
	s_mov_b32 s54, s7
	s_mov_b32 s55, s10
	v_pk_mul_f32 v[120:121], v[82:83], s[52:53] op_sel_hi:[0,1]
	s_mov_b32 s50, s19
	v_pk_fma_f32 v[122:123], v[34:35], s[28:29], v[120:121] op_sel:[1,0,0] neg_lo:[1,0,0] neg_hi:[1,0,0]
	v_pk_mul_f32 v[124:125], v[50:51], s[54:55] op_sel_hi:[0,1]
	v_pk_add_f32 v[122:123], v[4:5], v[122:123] op_sel:[1,0]
	v_pk_fma_f32 v[126:127], v[36:37], s[50:51], v[124:125] op_sel:[1,0,0] neg_lo:[1,0,0] neg_hi:[1,0,0]
	s_mov_b32 s52, s12
	s_mov_b32 s53, s6
	v_pk_add_f32 v[122:123], v[122:123], v[126:127]
	s_mov_b32 s48, s16
	v_pk_mul_f32 v[126:127], v[52:53], s[52:53] op_sel_hi:[0,1]
	v_pk_fma_f32 v[128:129], v[38:39], s[48:49], v[126:127] op_sel:[1,0,0] neg_lo:[1,0,0] neg_hi:[1,0,0]
	s_mov_b32 s52, s14
	s_mov_b32 s53, s13
	v_pk_add_f32 v[122:123], v[122:123], v[128:129]
	v_pk_mul_f32 v[128:129], v[54:55], s[52:53] op_sel_hi:[0,1]
	v_pk_fma_f32 v[130:131], v[40:41], s[26:27], v[128:129] op_sel:[1,0,0] neg_lo:[1,0,0] neg_hi:[1,0,0]
	s_mov_b32 s52, s13
	s_mov_b32 s53, s7
	v_pk_add_f32 v[122:123], v[122:123], v[130:131]
	s_mov_b32 s58, s27
	s_mov_b32 s59, s19
	v_pk_mul_f32 v[130:131], v[46:47], s[52:53] op_sel_hi:[0,1]
	v_pk_fma_f32 v[132:133], v[42:43], s[58:59], v[130:131] op_sel:[1,0,0] neg_lo:[1,0,0] neg_hi:[1,0,0]
	s_mov_b32 s54, s10
	s_mov_b32 s55, s15
	v_pk_add_f32 v[122:123], v[122:123], v[132:133]
	s_mov_b32 s52, s23
	s_mov_b32 s53, s20
	;; [unrolled: 7-line block ×4, first 2 shown]
	v_pk_mul_f32 v[136:137], v[26:27], s[60:61] op_sel_hi:[0,1]
	v_pk_fma_f32 v[138:139], v[28:29], s[56:57], v[136:137] op_sel:[1,0,0] neg_lo:[1,0,0] neg_hi:[1,0,0]
	v_mul_f32_e32 v69, 0x3ee437d1, v50
	v_pk_add_f32 v[122:123], v[122:123], v[138:139]
	ds_write2_b32 v10, v122, v123 offset0:4 offset1:5
	v_mul_f32_e32 v122, 0xbf4c4adb, v35
	v_mul_f32_e32 v123, 0xbf06c442, v35
	v_pk_add_f32 v[84:85], v[84:85], v[122:123] neg_lo:[0,1] neg_hi:[0,1]
	v_mul_f32_e32 v122, 0x3f763a35, v37
	v_mul_f32_e32 v123, 0x3f65296c, v37
	v_pk_add_f32 v[84:85], v[4:5], v[84:85] op_sel:[1,0]
	v_pk_add_f32 v[122:123], v[68:69], v[122:123] neg_lo:[0,1] neg_hi:[0,1]
	v_mul_f32_e32 v71, 0x3dbcf732, v52
	v_pk_add_f32 v[84:85], v[84:85], v[122:123]
	v_mul_f32_e32 v122, 0xbeb8f4ab, v39
	v_mul_f32_e32 v123, 0xbf7ee86f, v39
	v_pk_add_f32 v[122:123], v[70:71], v[122:123] neg_lo:[0,1] neg_hi:[0,1]
	v_mul_f32_e32 v73, 0xbf1a4643, v54
	v_pk_add_f32 v[84:85], v[84:85], v[122:123]
	v_mul_f32_e32 v122, 0xbf06c442, v41
	v_mul_f32_e32 v123, 0x3f4c4adb, v41
	;; [unrolled: 5-line block ×6, first 2 shown]
	v_pk_add_f32 v[122:123], v[80:81], v[122:123] neg_lo:[0,1] neg_hi:[0,1]
	v_mul_f32_e32 v6, 0xbf7ba420, v82
	v_pk_add_f32 v[84:85], v[84:85], v[122:123]
	v_mul_f32_e32 v8, 0xbe3c28d5, v35
	ds_write2_b32 v10, v84, v85 offset0:6 offset1:7
	v_pk_add_f32 v[82:83], v[6:7], v[8:9] neg_lo:[0,1] neg_hi:[0,1]
	v_pk_add_f32 v[84:85], v[6:7], v[8:9]
	v_mul_f32_e32 v6, 0x3f6eb680, v50
	v_mul_f32_e32 v8, 0x3eb8f4ab, v37
	v_mov_b32_e32 v83, v84
	v_pk_add_f32 v[84:85], v[6:7], v[8:9] neg_lo:[0,1] neg_hi:[0,1]
	v_pk_add_f32 v[122:123], v[6:7], v[8:9]
	v_pk_add_f32 v[82:83], v[4:5], v[82:83] op_sel:[1,0]
	v_mov_b32_e32 v85, v122
	v_mul_f32_e32 v6, 0xbf59a7d5, v52
	v_mul_f32_e32 v8, 0xbf06c442, v39
	v_pk_add_f32 v[82:83], v[82:83], v[84:85]
	v_pk_add_f32 v[84:85], v[6:7], v[8:9] neg_lo:[0,1] neg_hi:[0,1]
	v_pk_add_f32 v[122:123], v[6:7], v[8:9]
	v_mul_f32_e32 v6, 0x3f3d2fb0, v54
	v_mov_b32_e32 v85, v122
	v_mul_f32_e32 v8, 0x3f2c7751, v41
	v_pk_add_f32 v[82:83], v[82:83], v[84:85]
	v_pk_add_f32 v[84:85], v[6:7], v[8:9] neg_lo:[0,1] neg_hi:[0,1]
	v_pk_add_f32 v[122:123], v[6:7], v[8:9]
	v_mul_f32_e32 v6, 0xbf1a4643, v46
	v_mov_b32_e32 v85, v122
	;; [unrolled: 6-line block ×5, first 2 shown]
	v_mul_f32_e32 v8, 0x3f7ee86f, v29
	v_pk_add_f32 v[82:83], v[82:83], v[84:85]
	v_pk_add_f32 v[84:85], v[6:7], v[8:9] neg_lo:[0,1] neg_hi:[0,1]
	v_pk_add_f32 v[122:123], v[6:7], v[8:9]
	v_fmamk_f32 v6, v37, 0x3f65296c, v69
	v_mov_b32_e32 v85, v122
	v_pk_add_f32 v[82:83], v[82:83], v[84:85]
	ds_write2_b32 v10, v82, v83 offset0:8 offset1:9
	v_pk_fma_f32 v[82:83], v[34:35], s[28:29], v[120:121] op_sel:[1,0,0]
	v_pk_fma_f32 v[84:85], v[36:37], s[50:51], v[124:125] op_sel:[1,0,0]
	v_pk_add_f32 v[82:83], v[4:5], v[82:83] op_sel:[1,0]
	v_add_f32_e32 v2, v2, v6
	v_pk_add_f32 v[82:83], v[82:83], v[84:85]
	v_pk_fma_f32 v[84:85], v[38:39], s[48:49], v[126:127] op_sel:[1,0,0]
	v_fmamk_f32 v6, v39, 0xbf7ee86f, v71
	v_pk_add_f32 v[82:83], v[82:83], v[84:85]
	v_pk_fma_f32 v[84:85], v[40:41], s[26:27], v[128:129] op_sel:[1,0,0]
	v_pk_fma_f32 v[68:69], v[32:33], s[52:53], v[132:133] op_sel:[1,0,0]
	v_pk_add_f32 v[82:83], v[82:83], v[84:85]
	v_pk_fma_f32 v[84:85], v[42:43], s[58:59], v[130:131] op_sel:[1,0,0]
	v_add_f32_e32 v2, v2, v6
	v_pk_add_f32 v[82:83], v[82:83], v[84:85]
	v_fmamk_f32 v6, v41, 0x3f4c4adb, v73
	v_pk_add_f32 v[68:69], v[82:83], v[68:69]
	v_pk_fma_f32 v[70:71], v[30:31], s[54:55], v[134:135] op_sel:[1,0,0]
	v_add_f32_e32 v2, v2, v6
	v_fmamk_f32 v6, v43, 0xbeb8f4ab, v75
	v_pk_add_f32 v[68:69], v[68:69], v[70:71]
	v_pk_fma_f32 v[70:71], v[28:29], s[56:57], v[136:137] op_sel:[1,0,0]
	v_add_f32_e32 v2, v2, v6
	v_fmamk_f32 v6, v33, 0xbe3c28d5, v77
	v_pk_add_f32 v[68:69], v[68:69], v[70:71]
	v_add_f32_e32 v2, v2, v6
	v_fmamk_f32 v6, v31, 0x3f2c7751, v79
	v_add_f32_e32 v8, v87, v86
	ds_write2_b32 v10, v69, v68 offset0:12 offset1:13
	v_pk_fma_f32 v[68:69], v[34:35], s[30:31], v[102:103] op_sel:[1,0,0]
	v_add_f32_e32 v2, v2, v6
	v_fmamk_f32 v6, v29, 0xbf763a35, v81
	v_add_f32_e32 v8, v5, v8
	v_pk_add_f32 v[4:5], v[4:5], v[68:69] op_sel:[1,0]
	v_pk_fma_f32 v[68:69], v[36:37], s[34:35], v[104:105] op_sel:[1,0,0]
	v_add_f32_e32 v2, v2, v6
	v_add_f32_e32 v6, v89, v88
	v_pk_add_f32 v[4:5], v[4:5], v[68:69]
	v_pk_fma_f32 v[68:69], v[38:39], s[36:37], v[106:107] op_sel:[1,0,0]
	v_add_f32_e32 v6, v8, v6
	v_add_f32_e32 v8, v91, v90
	v_pk_add_f32 v[4:5], v[4:5], v[68:69]
	;; [unrolled: 4-line block ×7, first 2 shown]
	v_add_f32_e32 v6, v6, v8
	ds_write2_b32 v10, v2, v3 offset0:10 offset1:11
	v_mov_b32_e32 v2, v5
	ds_write2_b32 v10, v5, v4 offset0:14 offset1:15
	ds_write_b32 v10, v6 offset:64
.LBB0_13:
	s_or_b64 exec, exec, s[24:25]
	v_pk_add_f32 v[4:5], v[22:23], v[64:65]
	v_mov_b32_e32 v12, v57
	v_pk_add_f32 v[4:5], v[4:5], v[66:67]
	v_pk_mul_f32 v[66:67], v[34:35], s[22:23] op_sel_hi:[0,1]
	v_pk_add_f32 v[4:5], v[4:5], v[62:63]
	s_mov_b32 s30, s11
	v_pk_add_f32 v[4:5], v[4:5], v[60:61]
	s_mov_b32 s31, s10
	v_pk_add_f32 v[4:5], v[4:5], v[58:59]
	v_pk_mul_f32 v[68:69], v[36:37], s[16:17] op_sel_hi:[0,1]
	v_mov_b32_e32 v64, v5
	v_pk_add_f32 v[84:85], v[64:65], v[12:13]
	s_mov_b32 s3, 0xbf7ee86f
	v_pk_fma_f32 v[64:65], v[84:85], s[30:31], v[66:67] op_sel:[1,0,0] neg_lo:[0,0,1] neg_hi:[0,0,1]
	v_pk_mul_f32 v[70:71], v[38:39], s[2:3] op_sel_hi:[0,1]
	s_mov_b32 s25, 0x3f4c4adb
	s_mov_b32 s24, s23
	v_pk_fma_f32 v[4:5], v[50:51], s[12:13], v[68:69] op_sel:[1,0,0] neg_lo:[0,0,1] neg_hi:[0,0,1]
	v_pk_add_f32 v[64:65], v[22:23], v[64:65] op_sel:[1,0]
	v_pk_mul_f32 v[72:73], v[40:41], s[24:25] op_sel_hi:[0,1]
	s_mov_b32 s21, s2
	v_pk_fma_f32 v[56:57], v[52:53], s[14:15], v[70:71] op_sel:[1,0,0] neg_lo:[0,0,1] neg_hi:[0,0,1]
	v_pk_add_f32 v[4:5], v[64:65], v[4:5]
	s_mov_b32 s34, s15
	s_mov_b32 s35, s14
	v_pk_mul_f32 v[74:75], v[42:43], s[20:21] op_sel_hi:[0,1]
	v_pk_fma_f32 v[58:59], v[54:55], s[10:11], v[72:73] op_sel:[1,0,0] neg_lo:[0,0,1] neg_hi:[0,0,1]
	v_pk_add_f32 v[4:5], v[4:5], v[56:57]
	v_lshlrev_b32_e32 v6, 2, v118
	v_pk_mul_f32 v[76:77], v[32:33], s[18:19] op_sel_hi:[0,1]
	s_mov_b32 s21, 0x3f2c7751
	s_mov_b32 s20, s19
	v_pk_fma_f32 v[60:61], v[46:47], s[34:35], v[74:75] op_sel:[1,0,0] neg_lo:[0,0,1] neg_hi:[0,0,1]
	v_pk_add_f32 v[4:5], v[4:5], v[58:59]
	v_add_u32_e32 v14, 0, v6
	s_mov_b32 s26, s7
	s_mov_b32 s27, s6
	v_pk_mul_f32 v[78:79], v[30:31], s[20:21] op_sel_hi:[0,1]
	v_pk_fma_f32 v[62:63], v[44:45], s[6:7], v[76:77] op_sel:[1,0,0] neg_lo:[0,0,1] neg_hi:[0,0,1]
	v_pk_add_f32 v[4:5], v[4:5], v[60:61]
	v_add_u32_e32 v106, v14, v119
	v_pk_add_f32 v[4:5], v[4:5], v[62:63]
	v_pk_fma_f32 v[56:57], v[48:49], s[26:27], v[78:79] op_sel:[1,0,0] neg_lo:[0,0,1] neg_hi:[0,0,1]
	v_add3_u32 v107, 0, v119, v6
	v_add_u32_e32 v8, 0x400, v106
	v_add_u32_e32 v10, 0x600, v106
	;; [unrolled: 1-line block ×4, first 2 shown]
	v_pk_add_f32 v[4:5], v[4:5], v[56:57]
	s_waitcnt lgkmcnt(0)
	s_barrier
	ds_read_b32 v2, v107
	ds_read2_b32 v[60:61], v106 offset0:102 offset1:204
	ds_read2_b32 v[62:63], v8 offset0:50 offset1:152
	;; [unrolled: 1-line block ×5, first 2 shown]
	s_mov_b32 s19, 0xbf763a35
	s_mov_b32 s18, s17
	;; [unrolled: 1-line block ×4, first 2 shown]
	v_pk_mul_f32 v[80:81], v[28:29], s[18:19] op_sel_hi:[0,1]
	v_pk_fma_f32 v[82:83], v[26:27], s[28:29], v[80:81] op_sel:[1,0,0] neg_lo:[0,0,1] neg_hi:[0,0,1]
	s_waitcnt lgkmcnt(0)
	v_pk_add_f32 v[4:5], v[4:5], v[82:83]
	s_barrier
	s_and_saveexec_b64 s[16:17], s[0:1]
	s_cbranch_execz .LBB0_15
; %bb.14:
	v_mov_b32_e32 v108, v51
	v_mov_b32_e32 v109, v36
	s_mov_b32 s1, 0xbf2c7751
	s_mov_b32 s0, 0x3f3d2fb0
	v_pk_mul_f32 v[110:111], v[108:109], s[0:1]
	s_mov_b32 s22, 0x3ee437d1
	v_pk_mul_f32 v[104:105], v[52:53], s[14:15] op_sel:[1,0]
	v_mov_b32_e32 v113, v110
	v_sub_f32_e32 v52, v110, v111
	v_mov_b32_e32 v110, v53
	v_mov_b32_e32 v111, v38
	s_mov_b32 s23, 0xbf65296c
	v_pk_fma_f32 v[108:109], v[108:109], s[0:1], v[112:113]
	v_pk_mul_f32 v[112:113], v[110:111], s[22:23]
	s_mov_b32 s2, 0x3dbcf732
	v_mov_b32_e32 v115, v112
	v_sub_f32_e32 v134, v112, v113
	v_mov_b32_e32 v112, v55
	v_mov_b32_e32 v113, v40
	v_pk_fma_f32 v[110:111], v[110:111], s[22:23], v[114:115]
	v_pk_mul_f32 v[114:115], v[112:113], s[2:3]
	s_mov_b32 s18, 0xbe8c1d8e
	v_mov_b32_e32 v117, v114
	v_sub_f32_e32 v135, v114, v115
	v_mov_b32_e32 v114, v47
	v_mov_b32_e32 v115, v42
	v_pk_fma_f32 v[112:113], v[112:113], s[2:3], v[116:117]
	v_pk_mul_f32 v[116:117], v[114:115], s[18:19]
	s_mov_b32 s14, 0xbf1a4643
	v_mov_b32_e32 v121, v116
	v_sub_f32_e32 v136, v116, v117
	s_mov_b32 s15, 0xbf4c4adb
	v_mov_b32_e32 v116, v45
	v_mov_b32_e32 v117, v32
	v_pk_fma_f32 v[114:115], v[114:115], s[18:19], v[120:121]
	v_pk_mul_f32 v[120:121], v[116:117], s[14:15]
	v_pk_mul_f32 v[102:103], v[50:51], s[12:13] op_sel:[1,0]
	s_mov_b32 s12, 0xbf59a7d5
	v_mov_b32_e32 v123, v120
	s_mov_b32 s13, 0xbf06c442
	v_pk_fma_f32 v[116:117], v[116:117], s[14:15], v[122:123]
	v_mov_b32_e32 v122, v49
	v_mov_b32_e32 v123, v30
	v_pk_mul_f32 v[124:125], v[122:123], s[12:13]
	v_mov_b32_e32 v24, v25
	v_mov_b32_e32 v25, 0x3f6eb680
	;; [unrolled: 1-line block ×3, first 2 shown]
	v_pk_add_f32 v[128:129], v[84:85], v[24:25]
	v_pk_mul_f32 v[24:25], v[84:85], v[24:25]
	v_pk_fma_f32 v[122:123], v[122:123], s[12:13], v[126:127]
	v_mul_f32_e32 v127, 0xbeb8f4ab, v34
	v_mov_b32_e32 v126, v11
	v_mov_b32_e32 v129, v25
	v_pk_add_f32 v[126:127], v[128:129], v[126:127]
	v_mov_b32_e32 v108, v9
	v_pk_add_f32 v[126:127], v[126:127], v[22:23]
	;; [unrolled: 2-line block ×4, first 2 shown]
	v_fmac_f32_e32 v25, 0x3eb8f4ab, v34
	v_pk_add_f32 v[110:111], v[112:113], v[6:7]
	v_add_f32_e32 v7, v23, v25
	v_add_f32_e32 v7, v7, v52
	;; [unrolled: 1-line block ×4, first 2 shown]
	v_mov_b32_e32 v88, v53
	v_mov_b32_e32 v89, v53
	v_sub_f32_e32 v9, v120, v121
	v_pk_mul_f32 v[108:109], v[48:49], s[26:27] op_sel:[1,0]
	s_mov_b32 s27, 0xbe3c28d5
	v_mul_f32_e32 v24, 0xbf59a7d5, v53
	s_mov_b32 s26, 0xbf7ba420
	v_add_f32_e32 v7, v7, v136
	v_mov_b32_e32 v52, v27
	v_mov_b32_e32 v53, v28
	;; [unrolled: 1-line block ×4, first 2 shown]
	v_pk_mul_f32 v[128:129], v[54:55], s[10:11] op_sel:[1,0]
	v_pk_mul_f32 v[126:127], v[44:45], s[6:7] op_sel:[1,0]
	v_mov_b32_e32 v114, v19
	v_mul_f32_e32 v44, 0x3f3d2fb0, v55
	v_add_f32_e32 v7, v7, v9
	v_sub_f32_e32 v9, v124, v125
	v_pk_mul_f32 v[54:55], v[52:53], s[26:27]
	v_mov_b32_e32 v86, v51
	v_mov_b32_e32 v87, v51
	v_mul_f32_e32 v6, 0xbe3c28d5, v34
	v_mul_f32_e32 v18, 0x3f6eb680, v51
	v_pk_add_f32 v[50:51], v[114:115], v[110:111]
	v_mov_b32_e32 v116, v15
	v_add_f32_e32 v9, v7, v9
	v_mov_b32_e32 v7, v54
	v_pk_add_f32 v[50:51], v[116:117], v[50:51]
	v_mov_b32_e32 v122, v17
	v_pk_fma_f32 v[52:53], v[52:53], s[26:27], v[6:7]
	v_mov_b32_e32 v35, v34
	v_pk_mul_f32 v[130:131], v[46:47], s[34:35] op_sel:[1,0]
	v_pk_add_f32 v[50:51], v[122:123], v[50:51]
	v_mov_b32_e32 v52, v13
	s_mov_b32 s34, s1
	s_mov_b32 s35, s23
	v_mov_b32_e32 v37, v36
	v_mov_b32_e32 v100, v85
	;; [unrolled: 1-line block ×3, first 2 shown]
	v_pk_add_f32 v[50:51], v[52:53], v[50:51]
	v_pk_mul_f32 v[52:53], v[34:35], s[34:35]
	s_mov_b32 s36, s3
	s_mov_b32 s37, s15
	;; [unrolled: 1-line block ×3, first 2 shown]
	v_mov_b32_e32 v39, v38
	v_mov_b32_e32 v82, v23
	;; [unrolled: 1-line block ×3, first 2 shown]
	v_sub_f32_e32 v7, v54, v55
	s_mov_b32 s34, s2
	s_mov_b32 s35, s14
	v_pk_mul_f32 v[54:55], v[36:37], s[36:37]
	s_mov_b32 s39, 0x3e3c28d5
	s_mov_b32 s38, s15
	v_pk_fma_f32 v[134:135], v[100:101], s[0:1], v[52:53]
	v_mov_b32_e32 v41, v40
	v_pk_fma_f32 v[110:111], v[86:87], s[34:35], v[54:55]
	s_mov_b32 s36, s14
	s_mov_b32 s37, s26
	v_pk_mul_f32 v[112:113], v[38:39], s[38:39]
	s_mov_b32 s41, 0x3f763a35
	s_mov_b32 s40, s27
	v_pk_add_f32 v[134:135], v[82:83], v[134:135]
	v_mov_b32_e32 v43, v42
	v_pk_fma_f32 v[114:115], v[88:89], s[36:37], v[112:113]
	s_mov_b32 s38, s26
	s_mov_b32 s39, s18
	v_pk_mul_f32 v[116:117], v[40:41], s[40:41]
	s_mov_b32 s20, 0x3f06c442
	v_pk_add_f32 v[110:111], v[134:135], v[110:111]
	v_pk_fma_f32 v[52:53], v[100:101], s[0:1], v[52:53] neg_lo:[0,0,1] neg_hi:[0,0,1]
	v_mov_b32_e32 v92, v47
	v_mov_b32_e32 v93, v47
	;; [unrolled: 1-line block ×3, first 2 shown]
	s_mov_b32 s11, 0xbeb8f4ab
	v_pk_fma_f32 v[120:121], v[90:91], s[38:39], v[116:117]
	s_mov_b32 s42, s12
	s_mov_b32 s43, s0
	v_pk_mul_f32 v[122:123], v[42:43], s[20:21]
	s_mov_b32 s10, s41
	v_pk_add_f32 v[110:111], v[110:111], v[114:115]
	v_pk_fma_f32 v[54:55], v[86:87], s[34:35], v[54:55] neg_lo:[0,0,1] neg_hi:[0,0,1]
	v_pk_add_f32 v[52:53], v[82:83], v[52:53]
	v_mov_b32_e32 v96, v45
	v_mov_b32_e32 v97, v45
	s_mov_b32 s7, 0x3f6eb680
	v_pk_fma_f32 v[124:125], v[92:93], s[42:43], v[122:123]
	s_mov_b32 s6, s18
	v_pk_mul_f32 v[134:135], v[32:33], s[10:11]
	v_pk_add_f32 v[110:111], v[110:111], v[120:121]
	v_pk_add_f32 v[52:53], v[52:53], v[54:55]
	v_pk_fma_f32 v[112:113], v[88:89], s[36:37], v[112:113] neg_lo:[0,0,1] neg_hi:[0,0,1]
	v_mov_b32_e32 v31, v30
	v_pk_mul_f32 v[132:133], v[84:85], s[30:31] op_sel:[1,0]
	s_mov_b32 s30, 0x3f65296c
	v_pk_fma_f32 v[114:115], v[96:97], s[6:7], v[134:135]
	v_pk_add_f32 v[110:111], v[110:111], v[124:125]
	s_mov_b32 s31, s3
	v_pk_add_f32 v[52:53], v[52:53], v[112:113]
	v_pk_fma_f32 v[116:117], v[90:91], s[38:39], v[116:117] neg_lo:[0,0,1] neg_hi:[0,0,1]
	v_mov_b32_e32 v94, v49
	v_mov_b32_e32 v95, v49
	v_pk_add_f32 v[110:111], v[110:111], v[114:115]
	s_mov_b32 s44, s22
	s_mov_b32 s45, s2
	v_pk_mul_f32 v[114:115], v[30:31], s[30:31]
	v_pk_add_f32 v[52:53], v[52:53], v[116:117]
	v_pk_fma_f32 v[122:123], v[92:93], s[42:43], v[122:123] neg_lo:[0,0,1] neg_hi:[0,0,1]
	v_mov_b32_e32 v29, v28
	v_pk_mul_f32 v[20:21], v[26:27], s[28:29] op_sel:[1,0]
	s_mov_b32 s28, 0x3eb8f4ab
	v_pk_fma_f32 v[120:121], v[94:95], s[44:45], v[114:115]
	s_mov_b32 s29, s13
	v_pk_fma_f32 v[134:135], v[96:97], s[6:7], v[134:135] neg_lo:[0,0,1] neg_hi:[0,0,1]
	v_pk_add_f32 v[52:53], v[52:53], v[122:123]
	v_mov_b32_e32 v98, v27
	v_mov_b32_e32 v99, v27
	v_pk_add_f32 v[110:111], v[110:111], v[120:121]
	s_mov_b32 s30, s7
	s_mov_b32 s31, s12
	v_pk_mul_f32 v[120:121], v[28:29], s[28:29]
	v_pk_add_f32 v[52:53], v[52:53], v[134:135]
	v_pk_fma_f32 v[114:115], v[94:95], s[44:45], v[114:115] neg_lo:[0,0,1] neg_hi:[0,0,1]
	v_pk_fma_f32 v[124:125], v[98:99], s[30:31], v[120:121]
	v_pk_add_f32 v[52:53], v[52:53], v[114:115]
	v_pk_fma_f32 v[114:115], v[98:99], s[30:31], v[120:121] neg_lo:[0,0,1] neg_hi:[0,0,1]
	s_mov_b32 s30, s3
	s_mov_b32 s31, s19
	v_pk_mul_f32 v[34:35], v[34:35], s[30:31]
	s_mov_b32 s34, s27
	s_mov_b32 s35, s20
	;; [unrolled: 1-line block ×3, first 2 shown]
	v_mul_f32_e32 v22, 0x3eb8f4ab, v36
	s_mov_b32 s30, s26
	s_mov_b32 s31, s12
	v_pk_mul_f32 v[36:37], v[36:37], s[34:35]
	s_mov_b32 s20, s41
	v_pk_fma_f32 v[134:135], v[100:101], s[2:3], v[34:35]
	v_mul_f32_e32 v26, 0xbf06c442, v38
	v_pk_add_f32 v[52:53], v[52:53], v[114:115]
	v_pk_fma_f32 v[114:115], v[86:87], s[30:31], v[36:37]
	s_mov_b32 s19, s0
	v_pk_mul_f32 v[38:39], v[38:39], s[20:21]
	s_mov_b32 s29, s23
	v_pk_add_f32 v[134:135], v[82:83], v[134:135]
	v_pk_fma_f32 v[34:35], v[100:101], s[2:3], v[34:35] neg_lo:[0,0,1] neg_hi:[0,0,1]
	v_mul_f32_e32 v46, 0x3f2c7751, v40
	v_pk_fma_f32 v[120:121], v[88:89], s[18:19], v[38:39]
	s_mov_b32 s34, s7
	s_mov_b32 s35, s22
	v_pk_mul_f32 v[40:41], v[40:41], s[28:29]
	s_mov_b32 s29, s26
	s_mov_b32 s26, s23
	v_pk_add_f32 v[114:115], v[134:135], v[114:115]
	v_pk_fma_f32 v[36:37], v[86:87], s[30:31], v[36:37] neg_lo:[0,0,1] neg_hi:[0,0,1]
	v_pk_add_f32 v[34:35], v[82:83], v[34:35]
	v_mul_f32_e32 v54, 0xbf4c4adb, v42
	v_pk_fma_f32 v[122:123], v[90:91], s[34:35], v[40:41]
	s_mov_b32 s28, s22
	v_pk_mul_f32 v[42:43], v[42:43], s[26:27]
	s_mov_b32 s27, 0x3f7ee86f
	s_mov_b32 s26, s13
	v_pk_add_f32 v[114:115], v[114:115], v[120:121]
	v_pk_fma_f32 v[38:39], v[88:89], s[18:19], v[38:39] neg_lo:[0,0,1] neg_hi:[0,0,1]
	v_pk_add_f32 v[34:35], v[34:35], v[36:37]
	v_mul_f32_e32 v112, 0x3f65296c, v32
	v_pk_fma_f32 v[134:135], v[92:93], s[28:29], v[42:43]
	s_mov_b32 s22, s12
	s_mov_b32 s23, s2
	v_pk_mul_f32 v[32:33], v[32:33], s[26:27]
	v_pk_add_f32 v[114:115], v[114:115], v[122:123]
	s_mov_b32 s10, s25
	v_pk_fma_f32 v[40:41], v[90:91], s[34:35], v[40:41] neg_lo:[0,0,1] neg_hi:[0,0,1]
	v_pk_add_f32 v[34:35], v[34:35], v[38:39]
	v_mul_f32_e32 v116, 0xbf763a35, v30
	v_pk_fma_f32 v[120:121], v[96:97], s[22:23], v[32:33]
	v_pk_add_f32 v[114:115], v[114:115], v[134:135]
	s_mov_b32 s6, s14
	v_pk_mul_f32 v[30:31], v[30:31], s[10:11]
	v_pk_fma_f32 v[42:43], v[92:93], s[28:29], v[42:43] neg_lo:[0,0,1] neg_hi:[0,0,1]
	v_pk_add_f32 v[34:35], v[34:35], v[40:41]
	v_pk_add_f32 v[114:115], v[114:115], v[120:121]
	v_pk_fma_f32 v[120:121], v[94:95], s[6:7], v[30:31]
	s_mov_b32 s1, s14
	s_mov_b32 s14, s21
	v_pk_fma_f32 v[32:33], v[96:97], s[22:23], v[32:33] neg_lo:[0,0,1] neg_hi:[0,0,1]
	v_pk_add_f32 v[34:35], v[34:35], v[42:43]
	v_pk_add_f32 v[114:115], v[114:115], v[120:121]
	v_pk_mul_f32 v[120:121], v[28:29], s[14:15]
	v_pk_add_f32 v[32:33], v[34:35], v[32:33]
	v_pk_fma_f32 v[30:31], v[94:95], s[6:7], v[30:31] neg_lo:[0,0,1] neg_hi:[0,0,1]
	v_pk_add_f32 v[42:43], v[132:133], v[66:67]
	v_pk_add_f32 v[30:31], v[32:33], v[30:31]
	v_pk_fma_f32 v[32:33], v[98:99], s[0:1], v[120:121] neg_lo:[0,0,1] neg_hi:[0,0,1]
	v_pk_add_f32 v[42:43], v[82:83], v[42:43]
	v_pk_add_f32 v[30:31], v[30:31], v[32:33]
	;; [unrolled: 1-line block ×13, first 2 shown]
	v_mul_f32_e32 v48, 0xbf1a4643, v47
	v_pk_add_f32 v[32:33], v[32:33], v[34:35]
	v_pk_add_f32 v[34:35], v[18:19], v[22:23]
	v_pk_add_f32 v[18:19], v[18:19], v[22:23] neg_lo:[0,1] neg_hi:[0,1]
	v_pk_add_f32 v[22:23], v[24:25], v[26:27] neg_lo:[0,1] neg_hi:[0,1]
	v_mov_b32_e32 v35, v18
	v_pk_add_f32 v[18:19], v[24:25], v[26:27]
	v_pk_add_f32 v[20:21], v[20:21], v[80:81]
	v_mov_b32_e32 v19, v22
	v_pk_add_f32 v[22:23], v[44:45], v[46:47]
	v_pk_add_f32 v[24:25], v[44:45], v[46:47] neg_lo:[0,1] neg_hi:[0,1]
	v_mul_f32_e32 v84, 0x3ee437d1, v45
	v_pk_add_f32 v[20:21], v[32:33], v[20:21]
	v_mul_f32_e32 v32, 0x3dbcf732, v27
	v_mov_b32_e32 v23, v24
	v_pk_add_f32 v[24:25], v[48:49], v[54:55]
	v_pk_add_f32 v[26:27], v[48:49], v[54:55] neg_lo:[0,1] neg_hi:[0,1]
	v_pk_add_f32 v[110:111], v[110:111], v[124:125]
	v_mul_f32_e32 v124, 0xbf7ba420, v85
	v_mov_b32_e32 v25, v26
	v_pk_add_f32 v[26:27], v[84:85], v[112:113]
	v_pk_add_f32 v[36:37], v[84:85], v[112:113] neg_lo:[0,1] neg_hi:[0,1]
	v_add_f32_e32 v9, v9, v7
	v_mov_b32_e32 v27, v36
	v_pk_add_f32 v[36:37], v[124:125], v[6:7]
	v_pk_add_f32 v[6:7], v[124:125], v[6:7] neg_lo:[0,1] neg_hi:[0,1]
	v_mul_f32_e32 v136, 0xbe8c1d8e, v49
	v_mov_b32_e32 v37, v6
	v_pk_add_f32 v[6:7], v[82:83], v[36:37]
	v_mul_f32_e32 v28, 0x3f7ee86f, v28
	v_pk_add_f32 v[6:7], v[6:7], v[34:35]
	v_lshlrev_b32_e32 v11, 6, v118
	v_pk_add_f32 v[6:7], v[6:7], v[18:19]
	v_pk_add_f32 v[18:19], v[136:137], v[116:117]
	;; [unrolled: 1-line block ×3, first 2 shown]
	v_pk_add_f32 v[22:23], v[136:137], v[116:117] neg_lo:[0,1] neg_hi:[0,1]
	v_pk_add_f32 v[6:7], v[6:7], v[24:25]
	v_mov_b32_e32 v19, v22
	v_pk_add_f32 v[6:7], v[6:7], v[26:27]
	v_pk_add_f32 v[22:23], v[32:33], v[28:29] neg_lo:[0,1] neg_hi:[0,1]
	v_pk_add_f32 v[6:7], v[6:7], v[18:19]
	v_pk_add_f32 v[18:19], v[32:33], v[28:29]
	v_pk_fma_f32 v[122:123], v[98:99], s[0:1], v[120:121]
	v_mov_b32_e32 v19, v22
	v_add3_u32 v11, v14, v11, v119
	v_pk_add_f32 v[114:115], v[114:115], v[122:123]
	v_pk_add_f32 v[6:7], v[6:7], v[18:19]
	ds_write2_b32 v11, v50, v51 offset1:1
	ds_write2_b32 v11, v110, v111 offset0:2 offset1:3
	ds_write2_b32 v11, v114, v115 offset0:4 offset1:5
	;; [unrolled: 1-line block ×6, first 2 shown]
	v_mov_b32_e32 v5, v52
	ds_write2_b32 v11, v53, v52 offset0:14 offset1:15
	ds_write_b32 v11, v9 offset:64
.LBB0_15:
	s_or_b64 exec, exec, s[16:17]
	s_movk_i32 s0, 0xf1
	v_mul_lo_u16_sdwa v5, v118, s0 dst_sel:DWORD dst_unused:UNUSED_PAD src0_sel:BYTE_0 src1_sel:DWORD
	v_lshrrev_b16_e32 v66, 12, v5
	v_mul_lo_u16_e32 v5, 17, v66
	v_sub_u16_e32 v67, v118, v5
	v_mov_b32_e32 v5, 10
	v_mul_u32_u24_sdwa v5, v67, v5 dst_sel:DWORD dst_unused:UNUSED_PAD src0_sel:BYTE_0 src1_sel:DWORD
	v_lshlrev_b32_e32 v5, 3, v5
	s_waitcnt lgkmcnt(0)
	s_barrier
	global_load_dwordx4 v[18:21], v5, s[4:5] offset:32
	global_load_dwordx3 v[36:38], v5, s[4:5] offset:48
	global_load_dwordx4 v[22:25], v5, s[4:5]
	global_load_dword v15, v5, s[4:5] offset:76
	global_load_dwordx4 v[28:31], v5, s[4:5] offset:16
	global_load_dwordx4 v[32:35], v5, s[4:5] offset:60
	ds_read_b32 v14, v107
	ds_read2_b32 v[6:7], v106 offset0:102 offset1:204
	ds_read2_b32 v[8:9], v8 offset0:50 offset1:152
	ds_read2_b32 v[10:11], v10 offset0:126 offset1:228
	ds_read2_b32 v[12:13], v12 offset0:74 offset1:176
	ds_read2_b32 v[16:17], v16 offset0:150 offset1:252
	v_mov_b32_e32 v43, v64
	v_mov_b32_e32 v26, v59
	v_mov_b32_e32 v27, v64
	s_waitcnt lgkmcnt(1)
	v_mov_b32_e32 v46, v13
	s_waitcnt lgkmcnt(0)
	v_mov_b32_e32 v47, v16
	v_mov_b32_e32 v41, v16
	;; [unrolled: 1-line block ×4, first 2 shown]
	s_mov_b32 s1, 0x3ed4b147
	s_mov_b32 s10, 0xbf75a155
	;; [unrolled: 1-line block ×5, first 2 shown]
	v_mov_b32_e32 v44, v57
	v_mov_b32_e32 v45, v58
	s_mov_b32 s14, 0x3f0a6770
	s_mov_b32 s15, 0x3f7d64f0
	s_mov_b32 s13, 0xbe11bafb
	s_mov_b32 s12, 0x3f575c64
	s_mov_b32 s18, 0xbf7d64f0
	s_mov_b32 s19, 0xbf0a6770
	s_mov_b32 s16, s13
	s_mov_b32 s17, s12
	s_mov_b32 s7, 0xbf68dda4
	s_mov_b32 s6, s2
	s_mov_b32 s0, s10
	s_mov_b32 s20, 0x3f68dda4
	s_mov_b32 s21, s18
	s_barrier
	s_waitcnt vmcnt(5)
	v_mov_b32_e32 v54, v18
	s_waitcnt vmcnt(4)
	v_mov_b32_e32 v49, v36
	s_waitcnt vmcnt(3)
	v_mul_f32_e32 v16, v6, v23
	v_mul_f32_e32 v13, v60, v23
	s_waitcnt vmcnt(2)
	v_mul_f32_e32 v5, v65, v15
	v_mul_f32_e32 v23, v17, v15
	v_mov_b32_e32 v51, v24
	s_waitcnt vmcnt(1)
	v_mov_b32_e32 v24, v29
	s_waitcnt vmcnt(0)
	v_mov_b32_e32 v52, v32
	v_mov_b32_e32 v53, v34
	;; [unrolled: 1-line block ×3, first 2 shown]
	v_fma_f32 v15, v60, v22, -v16
	v_fmac_f32_e32 v13, v6, v22
	v_fmac_f32_e32 v5, v17, v35
	v_mov_b32_e32 v60, v62
	v_mov_b32_e32 v6, v8
	;; [unrolled: 1-line block ×7, first 2 shown]
	v_fma_f32 v23, v65, v35, -v23
	v_pk_mul_f32 v[16:17], v[46:47], v[52:53]
	v_pk_mul_f32 v[18:19], v[42:43], v[38:39]
	v_mov_b32_e32 v62, v56
	v_mov_b32_e32 v8, v10
	v_sub_f32_e32 v22, v13, v5
	v_pk_mul_f32 v[34:35], v[6:7], v[24:25]
	v_pk_mul_f32 v[24:25], v[60:61], v[24:25]
	v_add_f32_e32 v36, v2, v15
	v_add_f32_e32 v10, v15, v23
	v_pk_fma_f32 v[28:29], v[26:27], v[28:29], v[16:17] neg_lo:[0,0,1] neg_hi:[0,0,1]
	v_pk_fma_f32 v[16:17], v[40:41], v[32:33], v[18:19]
	v_pk_mul_f32 v[18:19], v[8:9], v[30:31]
	v_pk_mul_f32 v[26:27], v[62:63], v[30:31]
	v_mul_f32_e32 v38, 0xbf68dda4, v22
	v_pk_fma_f32 v[30:31], v[60:61], v[50:51], v[34:35] neg_lo:[0,0,1] neg_hi:[0,0,1]
	v_pk_fma_f32 v[32:33], v[6:7], v[50:51], v[24:25]
	v_pk_fma_f32 v[24:25], v[62:63], v[54:55], v[18:19] neg_lo:[0,0,1] neg_hi:[0,0,1]
	v_fma_f32 v6, v10, s1, -v38
	v_add_f32_e32 v7, v36, v31
	v_pk_add_f32 v[18:19], v[32:33], v[16:17] neg_lo:[0,1] neg_hi:[0,1]
	v_pk_fma_f32 v[26:27], v[8:9], v[54:55], v[26:27]
	v_pk_add_f32 v[8:9], v[30:31], v[28:29]
	v_add_f32_e32 v36, v2, v6
	v_add_f32_e32 v40, v7, v30
	v_pk_mul_f32 v[6:7], v[18:19], s[2:3]
	v_fmac_f32_e32 v38, 0x3ed4b147, v10
	v_pk_fma_f32 v[34:35], v[8:9], s[10:11], v[6:7] neg_lo:[0,0,1] neg_hi:[0,0,1]
	v_add_f32_e32 v38, v2, v38
	v_pk_fma_f32 v[6:7], v[8:9], s[10:11], v[6:7]
	v_add_f32_e32 v35, v35, v36
	v_add_f32_e32 v7, v7, v38
	;; [unrolled: 1-line block ×3, first 2 shown]
	v_mov_b32_e32 v34, v11
	v_mov_b32_e32 v35, v12
	;; [unrolled: 1-line block ×4, first 2 shown]
	v_add_f32_e32 v43, v6, v7
	v_mov_b32_e32 v6, v20
	v_mov_b32_e32 v7, v49
	v_pk_mul_f32 v[34:35], v[34:35], v[36:37]
	v_mov_b32_e32 v38, v11
	v_mov_b32_e32 v39, v58
	;; [unrolled: 1-line block ×3, first 2 shown]
	v_pk_fma_f32 v[34:35], v[44:45], v[6:7], v[34:35] neg_lo:[0,0,1] neg_hi:[0,0,1]
	v_mov_b32_e32 v6, v57
	v_mov_b32_e32 v7, v12
	v_pk_mul_f32 v[20:21], v[38:39], v[20:21]
	s_mov_b32 s2, s19
	v_pk_fma_f32 v[36:37], v[6:7], v[48:49], v[20:21]
	v_add_f32_e32 v6, v40, v25
	v_add_f32_e32 v6, v6, v24
	;; [unrolled: 1-line block ×6, first 2 shown]
	v_pk_add_f32 v[38:39], v[26:27], v[36:37] neg_lo:[0,1] neg_hi:[0,1]
	v_add_f32_e32 v12, v6, v23
	v_pk_add_f32 v[20:21], v[24:25], v[34:35]
	v_pk_mul_f32 v[6:7], v[38:39], s[14:15]
	s_nop 0
	v_pk_fma_f32 v[40:41], v[20:21], s[12:13], v[6:7] neg_lo:[0,0,1] neg_hi:[0,0,1]
	v_pk_fma_f32 v[6:7], v[20:21], s[12:13], v[6:7]
	v_add_f32_e32 v11, v41, v42
	v_add_f32_e32 v7, v7, v43
	;; [unrolled: 1-line block ×4, first 2 shown]
	v_pk_mul_f32 v[6:7], v[22:23], s[18:19] op_sel_hi:[0,1]
	v_pk_fma_f32 v[40:41], v[10:11], s[16:17], v[6:7] op_sel_hi:[0,1,1] neg_lo:[0,0,1] neg_hi:[0,0,1]
	v_add_f32_e32 v44, v2, v41
	v_add_f32_e32 v45, v2, v40
	v_pk_fma_f32 v[6:7], v[10:11], s[16:17], v[6:7] op_sel_hi:[0,1,1]
	v_pk_mul_f32 v[40:41], v[18:19], s[6:7] op_sel:[1,0]
	v_pk_add_f32 v[6:7], v[2:3], v[6:7] op_sel_hi:[0,1]
	v_pk_fma_f32 v[42:43], v[8:9], s[0:1], v[40:41] op_sel:[1,0,0] neg_lo:[0,0,1] neg_hi:[0,0,1]
	v_pk_fma_f32 v[40:41], v[8:9], s[0:1], v[40:41] op_sel:[1,0,0]
	s_mov_b32 s6, s1
	v_pk_add_f32 v[6:7], v[40:41], v[6:7]
	s_mov_b32 s7, s13
	v_pk_mul_f32 v[40:41], v[18:19], s[20:21] op_sel_hi:[0,1]
	v_add_f32_e32 v44, v43, v44
	v_add_f32_e32 v45, v42, v45
	v_pk_fma_f32 v[42:43], v[8:9], s[6:7], v[40:41] op_sel_hi:[0,1,1] neg_lo:[0,0,1] neg_hi:[0,0,1]
	v_pk_fma_f32 v[40:41], v[8:9], s[6:7], v[40:41] op_sel_hi:[0,1,1]
	v_pk_add_f32 v[6:7], v[40:41], v[6:7]
	s_mov_b32 s13, s11
	v_pk_mul_f32 v[40:41], v[38:39], s[2:3] op_sel:[1,0]
	v_add_f32_e32 v44, v43, v44
	v_add_f32_e32 v45, v42, v45
	v_pk_fma_f32 v[42:43], v[20:21], s[12:13], v[40:41] op_sel:[1,0,0] neg_lo:[0,0,1] neg_hi:[0,0,1]
	v_pk_fma_f32 v[40:41], v[20:21], s[12:13], v[40:41] op_sel:[1,0,0]
	s_mov_b32 s18, s11
	s_mov_b32 s19, s10
	;; [unrolled: 1-line block ×4, first 2 shown]
	v_pk_add_f32 v[6:7], v[40:41], v[6:7]
	v_pk_mul_f32 v[40:41], v[38:39], s[10:11] op_sel_hi:[0,1]
	v_add_f32_e32 v44, v43, v44
	v_add_f32_e32 v45, v42, v45
	v_pk_fma_f32 v[42:43], v[20:21], s[18:19], v[40:41] op_sel_hi:[0,1,1] neg_lo:[0,0,1] neg_hi:[0,0,1]
	v_pk_fma_f32 v[40:41], v[20:21], s[18:19], v[40:41] op_sel_hi:[0,1,1]
	v_pk_add_f32 v[6:7], v[40:41], v[6:7]
	v_pk_mul_f32 v[40:41], v[22:23], s[10:11] op_sel_hi:[0,1]
	v_add_f32_e32 v47, v43, v44
	v_add_f32_e32 v48, v42, v45
	v_pk_fma_f32 v[42:43], v[10:11], s[18:19], v[40:41] op_sel_hi:[0,1,1] neg_lo:[0,0,1] neg_hi:[0,0,1]
	v_pk_fma_f32 v[40:41], v[10:11], s[18:19], v[40:41] op_sel_hi:[0,1,1]
	s_mov_b32 s18, s15
	s_mov_b32 s19, s14
	v_add_f32_e32 v22, v2, v42
	v_add_f32_e32 v49, v2, v43
	v_pk_mul_f32 v[42:43], v[18:19], s[18:19] op_sel:[1,0]
	v_pk_add_f32 v[40:41], v[2:3], v[40:41] op_sel_hi:[0,1]
	v_pk_fma_f32 v[44:45], v[8:9], s[16:17], v[42:43] op_sel:[1,0,0] neg_lo:[0,0,1] neg_hi:[0,0,1]
	v_pk_fma_f32 v[42:43], v[8:9], s[16:17], v[42:43] op_sel:[1,0,0]
	v_pk_mul_f32 v[18:19], v[18:19], s[2:3] op_sel_hi:[0,1]
	s_mov_b32 s2, s11
	s_mov_b32 s3, s20
	v_pk_add_f32 v[40:41], v[42:43], v[40:41]
	v_pk_fma_f32 v[42:43], v[8:9], s[12:13], v[18:19] op_sel_hi:[0,1,1] neg_lo:[0,0,1] neg_hi:[0,0,1]
	v_pk_fma_f32 v[8:9], v[8:9], s[12:13], v[18:19] op_sel_hi:[0,1,1]
	v_pk_mul_f32 v[18:19], v[38:39], s[2:3] op_sel:[1,0]
	v_pk_add_f32 v[8:9], v[8:9], v[40:41]
	v_pk_fma_f32 v[40:41], v[20:21], s[0:1], v[18:19] op_sel:[1,0,0] neg_lo:[0,0,1] neg_hi:[0,0,1]
	v_pk_fma_f32 v[18:19], v[20:21], s[0:1], v[18:19] op_sel:[1,0,0]
	v_add_f32_e32 v2, v44, v22
	v_pk_add_f32 v[8:9], v[18:19], v[8:9]
	v_pk_mul_f32 v[18:19], v[38:39], s[20:21] op_sel_hi:[0,1]
	v_pk_fma_f32 v[38:39], v[20:21], s[6:7], v[18:19] op_sel_hi:[0,1,1] neg_lo:[0,0,1] neg_hi:[0,0,1]
	v_pk_fma_f32 v[18:19], v[20:21], s[6:7], v[18:19] op_sel_hi:[0,1,1]
	v_add_f32_e32 v10, v45, v49
	v_add_f32_e32 v2, v42, v2
	v_pk_add_f32 v[8:9], v[18:19], v[8:9]
	s_movk_i32 s0, 0x2ec
	v_mov_b32_e32 v19, 2
	v_add_f32_e32 v10, v43, v10
	v_add_f32_e32 v2, v40, v2
	v_mad_u32_u24 v18, v66, s0, 0
	v_lshlrev_b32_sdwa v19, v19, v67 dst_sel:DWORD dst_unused:UNUSED_PAD src0_sel:DWORD src1_sel:BYTE_0
	v_add_f32_e32 v10, v41, v10
	v_add_f32_e32 v2, v38, v2
	v_add3_u32 v38, v18, v19, v119
	v_add_f32_e32 v10, v39, v10
	ds_write2_b32 v38, v12, v47 offset1:17
	ds_write2_b32 v38, v46, v48 offset0:34 offset1:51
	ds_write2_b32 v38, v2, v10 offset0:68 offset1:85
	;; [unrolled: 1-line block ×4, first 2 shown]
	ds_write_b32 v38, v7 offset:680
	v_add_u32_e32 v2, 0x200, v106
	s_waitcnt lgkmcnt(0)
	s_barrier
	ds_read2_b32 v[18:19], v2 offset0:59 offset1:246
	v_add_u32_e32 v2, 0x800, v106
	ds_read2_b32 v[20:21], v2 offset0:49 offset1:236
	ds_read_b32 v12, v107
	ds_read_b32 v22, v106 offset:3740
	s_movk_i32 s0, 0x55
	s_movk_i32 s2, 0x54
	v_cmp_gt_u32_e64 s[0:1], s0, v118
	v_cmp_lt_u32_e64 s[2:3], s2, v118
	s_and_saveexec_b64 s[6:7], s[2:3]
	s_xor_b64 s[6:7], exec, s[6:7]
	s_andn2_saveexec_b64 s[6:7], s[6:7]
	s_cbranch_execz .LBB0_17
; %bb.16:
	v_add_u32_e32 v2, 0x100, v106
	ds_read2_b32 v[6:7], v2 offset0:38 offset1:225
	v_add_u32_e32 v2, 0x700, v106
	ds_read2_b32 v[10:11], v2 offset0:28 offset1:215
	;; [unrolled: 2-line block ×3, first 2 shown]
	s_waitcnt lgkmcnt(2)
	v_mov_b32_e32 v8, v7
	v_mov_b32_e32 v9, v6
	s_waitcnt lgkmcnt(1)
	v_mov_b32_e32 v6, v10
	s_waitcnt lgkmcnt(0)
	v_mov_b32_e32 v7, v2
.LBB0_17:
	s_or_b64 exec, exec, s[6:7]
	v_add_f32_e32 v39, v14, v13
	v_sub_f32_e32 v10, v15, v23
	v_add_f32_e32 v23, v39, v33
	v_add_f32_e32 v23, v23, v32
	;; [unrolled: 1-line block ×5, first 2 shown]
	v_mul_f32_e32 v13, 0xbf4178ce, v10
	s_mov_b32 s6, 0xbf27a4f4
	v_pk_add_f32 v[28:29], v[30:31], v[28:29] neg_lo:[0,1] neg_hi:[0,1]
	v_add_f32_e32 v23, v23, v36
	s_mov_b32 s7, 0xbf75a155
	v_fmamk_f32 v15, v2, 0xbf27a4f4, v13
	v_fma_f32 v13, v2, s6, -v13
	v_pk_add_f32 v[32:33], v[32:33], v[16:17]
	v_mul_f32_e32 v30, 0x3f7d64f0, v29
	s_mov_b32 s13, 0xbe11bafb
	v_add_f32_e32 v23, v23, v37
	v_add_f32_e32 v13, v14, v13
	v_fmamk_f32 v31, v33, 0xbe11bafb, v30
	v_fma_f32 v30, v33, s13, -v30
	v_add_f32_e32 v16, v23, v16
	v_add_f32_e32 v15, v14, v15
	;; [unrolled: 1-line block ×3, first 2 shown]
	v_mul_f32_e32 v30, 0xbf0a6770, v28
	v_add_f32_e32 v16, v16, v17
	v_pk_add_f32 v[24:25], v[24:25], v[34:35] neg_lo:[0,1] neg_hi:[0,1]
	v_add_f32_e32 v15, v31, v15
	v_fmamk_f32 v31, v32, 0x3f575c64, v30
	v_add_f32_e32 v23, v16, v5
	v_pk_add_f32 v[26:27], v[26:27], v[36:37]
	v_mul_f32_e32 v5, 0xbe903f40, v25
	s_mov_b32 s17, 0x3f575c64
	v_add_f32_e32 v15, v31, v15
	v_fmamk_f32 v16, v27, 0xbf75a155, v5
	s_mov_b32 s19, 0xbf7d64f0
	s_mov_b32 s18, 0xbf68dda4
	v_fma_f32 v30, v32, s17, -v30
	v_add_f32_e32 v15, v16, v15
	s_mov_b32 s12, 0x3ed4b147
	v_pk_mul_f32 v[16:17], v[10:11], s[18:19] op_sel_hi:[0,1]
	s_mov_b32 s10, 0xbf4178ce
	v_add_f32_e32 v13, v30, v13
	v_fma_f32 v5, v27, s7, -v5
	v_pk_fma_f32 v[30:31], v[2:3], s[12:13], v[16:17] op_sel_hi:[0,1,1]
	s_mov_b32 s11, 0x3e903f40
	v_add_f32_e32 v5, v5, v13
	v_add_f32_e32 v13, v14, v30
	v_add_f32_e32 v36, v14, v31
	v_pk_fma_f32 v[16:17], v[2:3], s[12:13], v[16:17] op_sel_hi:[0,1,1] neg_lo:[0,0,1] neg_hi:[0,0,1]
	v_pk_mul_f32 v[30:31], v[28:29], s[10:11] op_sel:[1,0]
	v_pk_add_f32 v[16:17], v[14:15], v[16:17] op_sel_hi:[0,1]
	v_pk_fma_f32 v[34:35], v[32:33], s[6:7], v[30:31] op_sel:[1,0,0]
	v_pk_fma_f32 v[30:31], v[32:33], s[6:7], v[30:31] op_sel:[1,0,0] neg_lo:[0,0,1] neg_hi:[0,0,1]
	s_mov_b32 s25, 0x3f68dda4
	s_mov_b32 s24, s11
	;; [unrolled: 1-line block ×3, first 2 shown]
	v_pk_add_f32 v[16:17], v[30:31], v[16:17]
	s_mov_b32 s22, s7
	s_mov_b32 s23, s12
	v_pk_mul_f32 v[30:31], v[28:29], s[24:25] op_sel_hi:[0,1]
	s_mov_b32 s21, 0xbf0a6770
	v_add_f32_e32 v13, v34, v13
	v_add_f32_e32 v36, v35, v36
	v_pk_fma_f32 v[34:35], v[32:33], s[22:23], v[30:31] op_sel_hi:[0,1,1]
	v_pk_fma_f32 v[30:31], v[32:33], s[22:23], v[30:31] op_sel_hi:[0,1,1] neg_lo:[0,0,1] neg_hi:[0,0,1]
	v_pk_add_f32 v[16:17], v[30:31], v[16:17]
	s_mov_b32 s16, s13
	v_pk_mul_f32 v[30:31], v[24:25], s[20:21] op_sel:[1,0]
	v_add_f32_e32 v13, v34, v13
	v_add_f32_e32 v36, v35, v36
	v_pk_fma_f32 v[34:35], v[26:27], s[16:17], v[30:31] op_sel:[1,0,0]
	v_pk_fma_f32 v[30:31], v[26:27], s[16:17], v[30:31] op_sel:[1,0,0] neg_lo:[0,0,1] neg_hi:[0,0,1]
	s_mov_b32 s26, 0x3f0a6770
	s_mov_b32 s27, s10
	v_pk_add_f32 v[16:17], v[30:31], v[16:17]
	s_mov_b32 s22, s17
	s_mov_b32 s23, s6
	v_pk_mul_f32 v[30:31], v[24:25], s[26:27] op_sel_hi:[0,1]
	v_add_f32_e32 v13, v34, v13
	v_add_f32_e32 v36, v35, v36
	v_pk_fma_f32 v[34:35], v[26:27], s[22:23], v[30:31] op_sel_hi:[0,1,1]
	v_pk_fma_f32 v[30:31], v[26:27], s[22:23], v[30:31] op_sel_hi:[0,1,1] neg_lo:[0,0,1] neg_hi:[0,0,1]
	v_pk_add_f32 v[16:17], v[30:31], v[16:17]
	v_mul_f32_e32 v30, 0x3f68dda4, v24
	s_mov_b32 s15, 0xbe903f40
	v_fmamk_f32 v31, v26, 0x3ed4b147, v30
	s_mov_b32 s14, s21
	v_add_f32_e32 v37, v31, v15
	v_fma_f32 v15, v26, s12, -v30
	s_mov_b32 s23, s7
	v_pk_mul_f32 v[30:31], v[10:11], s[14:15] op_sel_hi:[0,1]
	v_add_f32_e32 v13, v34, v13
	v_add_f32_e32 v36, v35, v36
	v_pk_fma_f32 v[34:35], v[2:3], s[22:23], v[30:31] op_sel_hi:[0,1,1]
	v_pk_fma_f32 v[30:31], v[2:3], s[22:23], v[30:31] op_sel_hi:[0,1,1] neg_lo:[0,0,1] neg_hi:[0,0,1]
	s_mov_b32 s20, s18
	s_mov_b32 s21, s26
	v_add_f32_e32 v5, v15, v5
	v_add_f32_e32 v10, v14, v34
	;; [unrolled: 1-line block ×3, first 2 shown]
	v_pk_add_f32 v[14:15], v[14:15], v[30:31] op_sel_hi:[0,1]
	s_mov_b32 s16, s12
	v_pk_mul_f32 v[30:31], v[28:29], s[20:21] op_sel:[1,0]
	s_mov_b32 s20, s19
	s_mov_b32 s21, s10
	v_pk_fma_f32 v[34:35], v[32:33], s[16:17], v[30:31] op_sel:[1,0,0]
	v_pk_fma_f32 v[30:31], v[32:33], s[16:17], v[30:31] op_sel:[1,0,0] neg_lo:[0,0,1] neg_hi:[0,0,1]
	s_mov_b32 s16, s13
	s_mov_b32 s17, s6
	v_pk_mul_f32 v[28:29], v[28:29], s[20:21] op_sel_hi:[0,1]
	v_pk_add_f32 v[14:15], v[30:31], v[14:15]
	v_pk_fma_f32 v[30:31], v[32:33], s[16:17], v[28:29] op_sel_hi:[0,1,1]
	v_pk_fma_f32 v[28:29], v[32:33], s[16:17], v[28:29] op_sel_hi:[0,1,1] neg_lo:[0,0,1] neg_hi:[0,0,1]
	s_mov_b32 s11, s25
	v_add_f32_e32 v2, v34, v10
	v_add_f32_e32 v10, v35, v39
	v_pk_add_f32 v[14:15], v[28:29], v[14:15]
	s_mov_b32 s16, s6
	s_mov_b32 s17, s12
	v_pk_mul_f32 v[28:29], v[24:25], s[10:11] op_sel:[1,0]
	s_mov_b32 s18, s15
	v_add_f32_e32 v2, v30, v2
	v_add_f32_e32 v10, v31, v10
	v_pk_fma_f32 v[30:31], v[26:27], s[16:17], v[28:29] op_sel:[1,0,0]
	v_pk_fma_f32 v[28:29], v[26:27], s[16:17], v[28:29] op_sel:[1,0,0] neg_lo:[0,0,1] neg_hi:[0,0,1]
	s_mov_b32 s12, s7
	v_pk_mul_f32 v[24:25], v[24:25], s[18:19] op_sel_hi:[0,1]
	v_add_f32_e32 v2, v30, v2
	v_pk_add_f32 v[14:15], v[28:29], v[14:15]
	v_pk_fma_f32 v[28:29], v[26:27], s[12:13], v[24:25] op_sel_hi:[0,1,1]
	v_add_f32_e32 v10, v31, v10
	v_add_f32_e32 v2, v28, v2
	v_pk_fma_f32 v[24:25], v[26:27], s[12:13], v[24:25] op_sel_hi:[0,1,1] neg_lo:[0,0,1] neg_hi:[0,0,1]
	v_add_f32_e32 v10, v29, v10
	v_pk_add_f32 v[14:15], v[24:25], v[14:15]
	s_waitcnt lgkmcnt(0)
	s_barrier
	ds_write2_b32 v38, v23, v2 offset1:17
	ds_write2_b32 v38, v13, v36 offset0:34 offset1:51
	ds_write2_b32 v38, v37, v10 offset0:68 offset1:85
	;; [unrolled: 1-line block ×4, first 2 shown]
	ds_write_b32 v38, v14 offset:680
	v_add_u32_e32 v2, 0x200, v106
	s_waitcnt lgkmcnt(0)
	s_barrier
	ds_read2_b32 v[24:25], v2 offset0:59 offset1:246
	v_add_u32_e32 v2, 0x800, v106
	ds_read2_b32 v[26:27], v2 offset0:49 offset1:236
	ds_read_b32 v13, v107
	ds_read_b32 v2, v106 offset:3740
	s_and_saveexec_b64 s[6:7], s[2:3]
	s_xor_b64 s[2:3], exec, s[6:7]
	s_cbranch_execnz .LBB0_21
; %bb.18:
	s_andn2_saveexec_b64 s[2:3], s[2:3]
	s_cbranch_execnz .LBB0_22
.LBB0_19:
	s_or_b64 exec, exec, s[2:3]
	s_and_saveexec_b64 s[2:3], vcc
	s_cbranch_execnz .LBB0_23
.LBB0_20:
	s_endpgm
.LBB0_21:
                                        ; implicit-def: $vgpr106
	s_andn2_saveexec_b64 s[2:3], s[2:3]
	s_cbranch_execz .LBB0_19
.LBB0_22:
	v_add_u32_e32 v10, 0xd00, v106
	v_add_u32_e32 v4, 0x100, v106
	ds_read2_b32 v[28:29], v10 offset0:18 offset1:205
	v_add_u32_e32 v10, 0x700, v106
	ds_read2_b32 v[4:5], v4 offset0:38 offset1:225
	ds_read2_b32 v[30:31], v10 offset0:28 offset1:215
	s_waitcnt lgkmcnt(2)
	v_mov_b32_e32 v14, v28
	s_waitcnt lgkmcnt(1)
	v_mov_b32_e32 v15, v4
	s_waitcnt lgkmcnt(0)
	v_mov_b32_e32 v16, v31
	v_mov_b32_e32 v17, v30
	v_mov_b32_e32 v4, v29
	s_or_b64 exec, exec, s[2:3]
	s_and_saveexec_b64 s[2:3], vcc
	s_cbranch_execz .LBB0_20
.LBB0_23:
	v_mul_u32_u24_e32 v10, 5, v118
	v_lshlrev_b32_e32 v10, 3, v10
	global_load_dwordx4 v[28:31], v10, s[4:5] offset:1360
	global_load_dwordx4 v[32:35], v10, s[4:5] offset:1376
	global_load_dwordx2 v[36:37], v10, s[4:5] offset:1392
	v_mad_u64_u32 v[38:39], s[2:3], s8, v118, 0
	v_add_u32_e32 v23, 0xbb, v118
	v_add_u32_e32 v41, 0x176, v118
	;; [unrolled: 1-line block ×5, first 2 shown]
	v_mov_b32_e32 v50, v39
	v_mad_u64_u32 v[52:53], s[6:7], s8, v23, 0
	v_mad_u64_u32 v[54:55], s[6:7], s8, v41, 0
	;; [unrolled: 1-line block ×6, first 2 shown]
	v_mov_b32_e32 v62, v53
	v_mov_b32_e32 v64, v55
	v_mov_b32_e32 v66, v57
	v_mov_b32_e32 v68, v59
	v_mov_b32_e32 v70, v61
	v_mov_b32_e32 v39, v50
	v_mad_u64_u32 v[50:51], s[6:7], s9, v23, v[62:63]
	v_mad_u64_u32 v[62:63], s[6:7], s9, v41, v[64:65]
	;; [unrolled: 1-line block ×5, first 2 shown]
	s_waitcnt lgkmcnt(3)
	v_mov_b32_e32 v10, v25
	s_waitcnt lgkmcnt(2)
	v_mov_b32_e32 v44, v27
	v_mov_b32_e32 v53, v50
	;; [unrolled: 1-line block ×10, first 2 shown]
	v_lshl_add_u64 v[50:51], v[52:53], 3, v[0:1]
	v_lshl_add_u64 v[52:53], v[54:55], 3, v[0:1]
	;; [unrolled: 1-line block ×5, first 2 shown]
	s_mov_b32 s2, 0x3f5db3d7
	s_mov_b32 s3, 0xbf5db3d7
	v_lshl_add_u64 v[38:39], v[38:39], 3, v[0:1]
	s_waitcnt vmcnt(2)
	v_pk_mul_f32 v[60:61], v[10:11], v[30:31] op_sel_hi:[0,1]
	s_waitcnt vmcnt(1)
	v_pk_mul_f32 v[44:45], v[44:45], v[34:35] op_sel_hi:[0,1]
	v_pk_mul_f32 v[20:21], v[20:21], v[32:33] op_sel_hi:[0,1]
	s_waitcnt vmcnt(0)
	v_pk_mul_f32 v[22:23], v[22:23], v[36:37] op_sel_hi:[0,1]
	v_pk_mul_f32 v[18:19], v[18:19], v[28:29] op_sel_hi:[0,1]
	v_pk_fma_f32 v[40:41], v[40:41], v[30:31], v[60:61] op_sel:[0,0,1] op_sel_hi:[1,1,0] neg_lo:[0,0,1] neg_hi:[0,0,1]
	v_pk_fma_f32 v[30:31], v[42:43], v[30:31], v[60:61] op_sel:[0,0,1] op_sel_hi:[0,1,0]
	v_pk_fma_f32 v[42:43], v[46:47], v[34:35], v[44:45] op_sel:[0,0,1] op_sel_hi:[1,1,0] neg_lo:[0,0,1] neg_hi:[0,0,1]
	v_pk_fma_f32 v[34:35], v[48:49], v[34:35], v[44:45] op_sel:[0,0,1] op_sel_hi:[0,1,0]
	v_pk_fma_f32 v[44:45], v[26:27], v[32:33], v[20:21] op_sel:[0,0,1] op_sel_hi:[1,1,0]
	v_pk_fma_f32 v[20:21], v[26:27], v[32:33], v[20:21] op_sel:[0,0,1] op_sel_hi:[0,1,0] neg_lo:[1,0,0] neg_hi:[1,0,0]
	s_waitcnt lgkmcnt(0)
	v_pk_fma_f32 v[26:27], v[2:3], v[36:37], v[22:23] op_sel:[0,0,1] op_sel_hi:[1,1,0]
	v_pk_fma_f32 v[22:23], v[2:3], v[36:37], v[22:23] op_sel:[0,0,1] op_sel_hi:[0,1,0] neg_lo:[1,0,0] neg_hi:[1,0,0]
	v_pk_fma_f32 v[32:33], v[24:25], v[28:29], v[18:19] op_sel:[0,0,1] op_sel_hi:[1,1,0]
	v_pk_fma_f32 v[18:19], v[24:25], v[28:29], v[18:19] op_sel:[0,0,1] op_sel_hi:[0,1,0] neg_lo:[1,0,0] neg_hi:[1,0,0]
	v_mov_b32_e32 v45, v21
	v_mov_b32_e32 v27, v23
	;; [unrolled: 1-line block ×3, first 2 shown]
	v_pk_add_f32 v[18:19], v[44:45], v[26:27] neg_lo:[0,1] neg_hi:[0,1]
	v_pk_add_f32 v[20:21], v[44:45], v[26:27]
	v_pk_mul_f32 v[18:19], v[18:19], s[2:3] op_sel_hi:[1,0]
	v_pk_fma_f32 v[20:21], v[20:21], 0.5, v[32:33] op_sel_hi:[1,0,1] neg_lo:[1,0,0] neg_hi:[1,0,0]
	v_mov_b32_e32 v41, v31
	v_mov_b32_e32 v43, v35
	v_pk_add_f32 v[24:25], v[20:21], v[18:19] op_sel:[0,1] op_sel_hi:[1,0]
	v_pk_add_f32 v[18:19], v[20:21], v[18:19] op_sel:[0,1] op_sel_hi:[1,0] neg_lo:[0,1] neg_hi:[0,1]
	v_pk_add_f32 v[22:23], v[40:41], v[42:43]
	v_pk_add_f32 v[28:29], v[40:41], v[42:43] neg_lo:[0,1] neg_hi:[0,1]
	v_mul_f32_e32 v10, 0x3f5db3d7, v18
	v_mov_b32_e32 v20, v24
	v_mov_b32_e32 v21, v19
	v_pk_fma_f32 v[22:23], v[22:23], 0.5, v[12:13] op_sel_hi:[1,0,1] neg_lo:[1,0,0] neg_hi:[1,0,0]
	v_pk_mul_f32 v[28:29], v[28:29], s[2:3] op_sel_hi:[1,0]
	v_mul_f32_e32 v2, 0xbf5db3d7, v25
	v_fmac_f32_e32 v10, 0.5, v25
	v_pk_add_f32 v[12:13], v[12:13], v[40:41]
	v_pk_add_f32 v[24:25], v[32:33], v[44:45]
	v_pk_add_f32 v[30:31], v[22:23], v[28:29] op_sel:[0,1] op_sel_hi:[1,0] neg_lo:[0,1] neg_hi:[0,1]
	v_pk_add_f32 v[22:23], v[22:23], v[28:29] op_sel:[0,1] op_sel_hi:[1,0]
	v_pk_mul_f32 v[34:35], v[20:21], 0.5 op_sel_hi:[1,0]
	v_pk_add_f32 v[12:13], v[12:13], v[42:43]
	v_pk_add_f32 v[24:25], v[24:25], v[26:27]
	v_fmac_f32_e32 v2, 0.5, v18
	v_mov_b32_e32 v28, v30
	v_mov_b32_e32 v29, v23
	v_pk_fma_f32 v[20:21], v[20:21], s[2:3], v[34:35] op_sel:[0,0,1] op_sel_hi:[1,1,0] neg_lo:[0,0,1] neg_hi:[0,0,1]
	v_pk_add_f32 v[26:27], v[12:13], v[24:25] op_sel:[0,1] op_sel_hi:[1,0] neg_lo:[0,1] neg_hi:[0,1]
	v_pk_add_f32 v[12:13], v[12:13], v[24:25] op_sel:[0,1] op_sel_hi:[1,0]
	v_sub_f32_e32 v18, v22, v10
	v_add_f32_e32 v23, v31, v2
	v_add_f32_e32 v22, v22, v10
	global_store_dwordx2 v[38:39], v[12:13], off
	global_store_dwordx2 v[50:51], v[22:23], off
	v_pk_add_f32 v[12:13], v[28:29], v[20:21]
	v_sub_f32_e32 v19, v31, v2
	v_pk_add_f32 v[34:35], v[28:29], v[20:21] neg_lo:[0,1] neg_hi:[0,1]
	global_store_dwordx2 v[52:53], v[12:13], off
	global_store_dwordx2 v[54:55], v[26:27], off
	;; [unrolled: 1-line block ×4, first 2 shown]
	s_and_b64 exec, exec, s[0:1]
	s_cbranch_execz .LBB0_20
; %bb.24:
	v_add_u32_e32 v29, 0x66, v118
	v_add_u32_e32 v2, 0xffffffab, v118
	v_cndmask_b32_e64 v2, v2, v29, s[0:1]
	v_mul_i32_i24_e32 v12, 5, v2
	v_mov_b32_e32 v13, 0
	v_lshl_add_u64 v[12:13], v[12:13], 3, s[4:5]
	global_load_dwordx4 v[18:21], v[12:13], off offset:1360
	global_load_dwordx4 v[22:25], v[12:13], off offset:1376
	global_load_dwordx2 v[26:27], v[12:13], off offset:1392
	v_mov_b32_e32 v2, v5
	v_mov_b32_e32 v10, v5
	;; [unrolled: 1-line block ×3, first 2 shown]
	v_add_u32_e32 v3, 0x121, v118
	v_add_u32_e32 v5, 0x1dc, v118
	v_mad_u64_u32 v[30:31], s[0:1], s8, v29, 0
	v_mad_u64_u32 v[32:33], s[0:1], s8, v3, 0
	;; [unrolled: 1-line block ×3, first 2 shown]
	v_mov_b32_e32 v36, v31
	v_mov_b32_e32 v38, v33
	;; [unrolled: 1-line block ×4, first 2 shown]
	v_mad_u64_u32 v[36:37], s[0:1], s9, v29, v[36:37]
	v_mad_u64_u32 v[38:39], s[0:1], s9, v3, v[38:39]
	;; [unrolled: 1-line block ×3, first 2 shown]
	v_mov_b32_e32 v31, v36
	v_mov_b32_e32 v33, v38
	;; [unrolled: 1-line block ×3, first 2 shown]
	v_add_u32_e32 v42, 0x297, v118
	v_lshl_add_u64 v[30:31], v[30:31], 3, v[0:1]
	v_lshl_add_u64 v[32:33], v[32:33], 3, v[0:1]
	v_lshl_add_u64 v[34:35], v[34:35], 3, v[0:1]
	s_waitcnt vmcnt(2)
	v_pk_mul_f32 v[36:37], v[8:9], v[18:19] op_sel_hi:[0,1]
	v_pk_mul_f32 v[38:39], v[16:17], v[20:21] op_sel:[1,0]
	s_waitcnt vmcnt(1)
	v_pk_mul_f32 v[12:13], v[12:13], v[22:23] op_sel_hi:[0,1]
	v_pk_mul_f32 v[40:41], v[14:15], v[24:25] op_sel_hi:[0,1]
	s_waitcnt vmcnt(0)
	v_pk_mul_f32 v[28:29], v[28:29], v[26:27] op_sel_hi:[0,1]
	v_mov_b32_e32 v14, v9
	v_pk_fma_f32 v[2:3], v[2:3], v[18:19], v[36:37] op_sel:[0,0,1] op_sel_hi:[1,1,0]
	v_pk_fma_f32 v[8:9], v[10:11], v[18:19], v[36:37] op_sel:[0,0,1] op_sel_hi:[0,1,0] neg_lo:[1,0,0] neg_hi:[1,0,0]
	v_pk_fma_f32 v[10:11], v[6:7], v[20:21], v[38:39] op_sel:[0,0,1] op_sel_hi:[1,1,0] neg_lo:[0,0,1] neg_hi:[0,0,1]
	v_pk_fma_f32 v[18:19], v[6:7], v[20:21], v[38:39] op_sel:[0,0,1] op_sel_hi:[0,1,0]
	v_pk_fma_f32 v[20:21], v[16:17], v[22:23], v[12:13] op_sel:[0,0,1] op_sel_hi:[1,1,0]
	v_pk_fma_f32 v[12:13], v[16:17], v[22:23], v[12:13] op_sel:[0,0,1] op_sel_hi:[0,1,0] neg_lo:[1,0,0] neg_hi:[1,0,0]
	v_pk_fma_f32 v[16:17], v[6:7], v[24:25], v[40:41] op_sel:[1,0,1] op_sel_hi:[1,1,0] neg_lo:[0,0,1] neg_hi:[0,0,1]
	v_pk_fma_f32 v[6:7], v[6:7], v[24:25], v[40:41] op_sel:[1,0,1] op_sel_hi:[1,1,0]
	v_pk_fma_f32 v[22:23], v[4:5], v[26:27], v[28:29] op_sel:[0,0,1] op_sel_hi:[1,1,0]
	v_pk_fma_f32 v[4:5], v[4:5], v[26:27], v[28:29] op_sel:[0,0,1] op_sel_hi:[0,1,0] neg_lo:[1,0,0] neg_hi:[1,0,0]
	v_mov_b32_e32 v11, v19
	v_mov_b32_e32 v21, v13
	;; [unrolled: 1-line block ×5, first 2 shown]
	v_pk_add_f32 v[4:5], v[10:11], v[16:17]
	v_pk_add_f32 v[6:7], v[10:11], v[16:17] neg_lo:[0,1] neg_hi:[0,1]
	v_pk_add_f32 v[8:9], v[20:21], v[22:23]
	v_pk_add_f32 v[12:13], v[20:21], v[22:23] neg_lo:[0,1] neg_hi:[0,1]
	v_pk_add_f32 v[10:11], v[14:15], v[10:11]
	v_pk_add_f32 v[18:19], v[2:3], v[20:21]
	v_pk_fma_f32 v[4:5], v[4:5], 0.5, v[14:15] op_sel_hi:[1,0,1] neg_lo:[1,0,0] neg_hi:[1,0,0]
	v_pk_mul_f32 v[6:7], v[6:7], s[2:3] op_sel_hi:[1,0]
	v_pk_fma_f32 v[2:3], v[8:9], 0.5, v[2:3] op_sel_hi:[1,0,1] neg_lo:[1,0,0] neg_hi:[1,0,0]
	v_pk_mul_f32 v[8:9], v[12:13], s[2:3] op_sel_hi:[1,0]
	v_pk_add_f32 v[10:11], v[10:11], v[16:17]
	v_pk_add_f32 v[12:13], v[18:19], v[22:23]
	v_pk_add_f32 v[14:15], v[6:7], v[4:5] op_sel:[1,0] op_sel_hi:[0,1]
	v_pk_add_f32 v[4:5], v[4:5], v[6:7] op_sel:[0,1] op_sel_hi:[1,0] neg_lo:[0,1] neg_hi:[0,1]
	v_pk_add_f32 v[6:7], v[8:9], v[2:3] op_sel:[1,0] op_sel_hi:[0,1]
	v_pk_add_f32 v[2:3], v[2:3], v[8:9] op_sel:[0,1] op_sel_hi:[1,0] neg_lo:[0,1] neg_hi:[0,1]
	;; [unrolled: 2-line block ×3, first 2 shown]
	v_mov_b32_e32 v12, v4
	v_mov_b32_e32 v13, v15
	;; [unrolled: 1-line block ×4, first 2 shown]
	v_mul_f32_e32 v4, 0x3f5db3d7, v2
	v_mul_f32_e32 v15, 0xbf5db3d7, v7
	v_fmac_f32_e32 v4, 0.5, v7
	v_pk_mul_f32 v[6:7], v[16:17], 0.5 op_sel_hi:[1,0]
	v_fmac_f32_e32 v15, 0.5, v2
	v_add_f32_e32 v2, v14, v4
	v_pk_fma_f32 v[6:7], v[16:17], s[2:3], v[6:7] op_sel:[0,0,1] op_sel_hi:[1,1,0] neg_lo:[0,0,1] neg_hi:[0,0,1]
	v_add_f32_e32 v3, v5, v15
	global_store_dwordx2 v[30:31], v[8:9], off
	v_pk_add_f32 v[8:9], v[12:13], v[6:7]
	global_store_dwordx2 v[32:33], v[2:3], off
	global_store_dwordx2 v[34:35], v[8:9], off
	v_mad_u64_u32 v[2:3], s[0:1], s8, v42, 0
	v_mov_b32_e32 v8, v3
	v_mad_u64_u32 v[8:9], s[0:1], s9, v42, v[8:9]
	v_mov_b32_e32 v3, v8
	v_lshl_add_u64 v[2:3], v[2:3], 3, v[0:1]
	v_add_u32_e32 v9, 0x352, v118
	global_store_dwordx2 v[2:3], v[10:11], off
	v_mad_u64_u32 v[2:3], s[0:1], s8, v9, 0
	v_mov_b32_e32 v8, v3
	v_mad_u64_u32 v[8:9], s[0:1], s9, v9, v[8:9]
	v_mov_b32_e32 v3, v8
	v_sub_f32_e32 v4, v14, v4
	v_sub_f32_e32 v5, v5, v15
	v_lshl_add_u64 v[2:3], v[2:3], 3, v[0:1]
	global_store_dwordx2 v[2:3], v[4:5], off
	v_add_u32_e32 v5, 0x40d, v118
	v_mad_u64_u32 v[2:3], s[0:1], s8, v5, 0
	v_mov_b32_e32 v4, v3
	v_mad_u64_u32 v[4:5], s[0:1], s9, v5, v[4:5]
	v_mov_b32_e32 v3, v4
	v_pk_add_f32 v[6:7], v[12:13], v[6:7] neg_lo:[0,1] neg_hi:[0,1]
	v_lshl_add_u64 v[0:1], v[2:3], 3, v[0:1]
	global_store_dwordx2 v[0:1], v[6:7], off
	s_endpgm
	.section	.rodata,"a",@progbits
	.p2align	6, 0x0
	.amdhsa_kernel fft_rtc_fwd_len1122_factors_17_11_6_wgs_204_tpt_102_halfLds_sp_ip_CI_sbrr_dirReg
		.amdhsa_group_segment_fixed_size 0
		.amdhsa_private_segment_fixed_size 0
		.amdhsa_kernarg_size 88
		.amdhsa_user_sgpr_count 2
		.amdhsa_user_sgpr_dispatch_ptr 0
		.amdhsa_user_sgpr_queue_ptr 0
		.amdhsa_user_sgpr_kernarg_segment_ptr 1
		.amdhsa_user_sgpr_dispatch_id 0
		.amdhsa_user_sgpr_kernarg_preload_length 0
		.amdhsa_user_sgpr_kernarg_preload_offset 0
		.amdhsa_user_sgpr_private_segment_size 0
		.amdhsa_uses_dynamic_stack 0
		.amdhsa_enable_private_segment 0
		.amdhsa_system_sgpr_workgroup_id_x 1
		.amdhsa_system_sgpr_workgroup_id_y 0
		.amdhsa_system_sgpr_workgroup_id_z 0
		.amdhsa_system_sgpr_workgroup_info 0
		.amdhsa_system_vgpr_workitem_id 0
		.amdhsa_next_free_vgpr 140
		.amdhsa_next_free_sgpr 62
		.amdhsa_accum_offset 140
		.amdhsa_reserve_vcc 1
		.amdhsa_float_round_mode_32 0
		.amdhsa_float_round_mode_16_64 0
		.amdhsa_float_denorm_mode_32 3
		.amdhsa_float_denorm_mode_16_64 3
		.amdhsa_dx10_clamp 1
		.amdhsa_ieee_mode 1
		.amdhsa_fp16_overflow 0
		.amdhsa_tg_split 0
		.amdhsa_exception_fp_ieee_invalid_op 0
		.amdhsa_exception_fp_denorm_src 0
		.amdhsa_exception_fp_ieee_div_zero 0
		.amdhsa_exception_fp_ieee_overflow 0
		.amdhsa_exception_fp_ieee_underflow 0
		.amdhsa_exception_fp_ieee_inexact 0
		.amdhsa_exception_int_div_zero 0
	.end_amdhsa_kernel
	.text
.Lfunc_end0:
	.size	fft_rtc_fwd_len1122_factors_17_11_6_wgs_204_tpt_102_halfLds_sp_ip_CI_sbrr_dirReg, .Lfunc_end0-fft_rtc_fwd_len1122_factors_17_11_6_wgs_204_tpt_102_halfLds_sp_ip_CI_sbrr_dirReg
                                        ; -- End function
	.section	.AMDGPU.csdata,"",@progbits
; Kernel info:
; codeLenInByte = 11532
; NumSgprs: 68
; NumVgprs: 140
; NumAgprs: 0
; TotalNumVgprs: 140
; ScratchSize: 0
; MemoryBound: 0
; FloatMode: 240
; IeeeMode: 1
; LDSByteSize: 0 bytes/workgroup (compile time only)
; SGPRBlocks: 8
; VGPRBlocks: 17
; NumSGPRsForWavesPerEU: 68
; NumVGPRsForWavesPerEU: 140
; AccumOffset: 140
; Occupancy: 3
; WaveLimiterHint : 1
; COMPUTE_PGM_RSRC2:SCRATCH_EN: 0
; COMPUTE_PGM_RSRC2:USER_SGPR: 2
; COMPUTE_PGM_RSRC2:TRAP_HANDLER: 0
; COMPUTE_PGM_RSRC2:TGID_X_EN: 1
; COMPUTE_PGM_RSRC2:TGID_Y_EN: 0
; COMPUTE_PGM_RSRC2:TGID_Z_EN: 0
; COMPUTE_PGM_RSRC2:TIDIG_COMP_CNT: 0
; COMPUTE_PGM_RSRC3_GFX90A:ACCUM_OFFSET: 34
; COMPUTE_PGM_RSRC3_GFX90A:TG_SPLIT: 0
	.text
	.p2alignl 6, 3212836864
	.fill 256, 4, 3212836864
	.type	__hip_cuid_48c4b040e501133b,@object ; @__hip_cuid_48c4b040e501133b
	.section	.bss,"aw",@nobits
	.globl	__hip_cuid_48c4b040e501133b
__hip_cuid_48c4b040e501133b:
	.byte	0                               ; 0x0
	.size	__hip_cuid_48c4b040e501133b, 1

	.ident	"AMD clang version 19.0.0git (https://github.com/RadeonOpenCompute/llvm-project roc-6.4.0 25133 c7fe45cf4b819c5991fe208aaa96edf142730f1d)"
	.section	".note.GNU-stack","",@progbits
	.addrsig
	.addrsig_sym __hip_cuid_48c4b040e501133b
	.amdgpu_metadata
---
amdhsa.kernels:
  - .agpr_count:     0
    .args:
      - .actual_access:  read_only
        .address_space:  global
        .offset:         0
        .size:           8
        .value_kind:     global_buffer
      - .offset:         8
        .size:           8
        .value_kind:     by_value
      - .actual_access:  read_only
        .address_space:  global
        .offset:         16
        .size:           8
        .value_kind:     global_buffer
      - .actual_access:  read_only
        .address_space:  global
        .offset:         24
        .size:           8
        .value_kind:     global_buffer
      - .offset:         32
        .size:           8
        .value_kind:     by_value
      - .actual_access:  read_only
        .address_space:  global
        .offset:         40
        .size:           8
        .value_kind:     global_buffer
      - .actual_access:  read_only
        .address_space:  global
        .offset:         48
        .size:           8
        .value_kind:     global_buffer
      - .offset:         56
        .size:           4
        .value_kind:     by_value
      - .actual_access:  read_only
        .address_space:  global
        .offset:         64
        .size:           8
        .value_kind:     global_buffer
      - .actual_access:  read_only
        .address_space:  global
        .offset:         72
        .size:           8
        .value_kind:     global_buffer
      - .address_space:  global
        .offset:         80
        .size:           8
        .value_kind:     global_buffer
    .group_segment_fixed_size: 0
    .kernarg_segment_align: 8
    .kernarg_segment_size: 88
    .language:       OpenCL C
    .language_version:
      - 2
      - 0
    .max_flat_workgroup_size: 204
    .name:           fft_rtc_fwd_len1122_factors_17_11_6_wgs_204_tpt_102_halfLds_sp_ip_CI_sbrr_dirReg
    .private_segment_fixed_size: 0
    .sgpr_count:     68
    .sgpr_spill_count: 0
    .symbol:         fft_rtc_fwd_len1122_factors_17_11_6_wgs_204_tpt_102_halfLds_sp_ip_CI_sbrr_dirReg.kd
    .uniform_work_group_size: 1
    .uses_dynamic_stack: false
    .vgpr_count:     140
    .vgpr_spill_count: 0
    .wavefront_size: 64
amdhsa.target:   amdgcn-amd-amdhsa--gfx950
amdhsa.version:
  - 1
  - 2
...

	.end_amdgpu_metadata
